;; amdgpu-corpus repo=zjin-lcf/HeCBench kind=compiled arch=gfx1030 opt=O3
	.amdgcn_target "amdgcn-amd-amdhsa--gfx1030"
	.amdhsa_code_object_version 6
	.text
	.protected	_Z13complex_floatPci    ; -- Begin function _Z13complex_floatPci
	.globl	_Z13complex_floatPci
	.p2align	8
	.type	_Z13complex_floatPci,@function
_Z13complex_floatPci:                   ; @_Z13complex_floatPci
; %bb.0:
	s_clause 0x1
	s_load_dword s0, s[4:5], 0x1c
	s_load_dword s1, s[4:5], 0x8
	s_waitcnt lgkmcnt(0)
	s_and_b32 s0, s0, 0xffff
	v_mad_u64_u32 v[0:1], null, s6, s0, v[0:1]
	s_mov_b32 s0, exec_lo
	v_cmpx_gt_i32_e64 s1, v0
	s_cbranch_execz .LBB0_8
; %bb.1:
	v_ashrrev_i32_e32 v8, 31, v0
	v_mov_b32_e32 v1, 0xe48e2826
	v_mov_b32_e32 v2, 0x26f19d38
	s_mov_b32 s3, 0
	s_mov_b32 s6, 0x26f19d38
	s_mov_b32 s2, exec_lo
	v_cmpx_ne_u32_e32 0, v0
	s_cbranch_execz .LBB0_7
; %bb.2:
	v_and_b32_e32 v1, 0x7fffffff, v8
	v_mov_b32_e32 v2, 1
	v_mov_b32_e32 v4, 0
	;; [unrolled: 1-line block ×6, first 2 shown]
	s_mov_b32 s7, 0xe48e2825
	s_mov_b64 s[0:1], 1
	s_inst_prefetch 0x1
	s_branch .LBB0_4
	.p2align	6
.LBB0_3:                                ;   in Loop: Header=BB0_4 Depth=1
	s_or_b32 exec_lo, exec_lo, s8
	s_add_u32 s8, s7, 1
	v_lshrrev_b64 v[9:10], 1, v[6:7]
	s_addc_u32 s9, s6, 0
	s_mul_i32 s1, s8, s1
	s_mul_hi_u32 s10, s8, s0
	s_mul_i32 s9, s9, s0
	s_add_i32 s1, s10, s1
	v_cmp_gt_u64_e32 vcc_lo, 2, v[6:7]
	s_add_i32 s1, s1, s9
	s_mul_i32 s6, s7, s6
	s_mul_hi_u32 s9, s7, s7
	v_mov_b32_e32 v6, v9
	s_mul_i32 s0, s8, s0
	s_add_i32 s8, s9, s6
	v_mov_b32_e32 v7, v10
	s_add_i32 s6, s8, s6
	s_or_b32 s3, vcc_lo, s3
	s_mul_i32 s7, s7, s7
	s_andn2_b32 exec_lo, exec_lo, s3
	s_cbranch_execz .LBB0_6
.LBB0_4:                                ; =>This Inner Loop Header: Depth=1
	v_and_b32_e32 v1, 1, v6
	s_mov_b32 s8, exec_lo
	v_cmpx_eq_u32_e32 1, v1
	s_cbranch_execz .LBB0_3
; %bb.5:                                ;   in Loop: Header=BB0_4 Depth=1
	v_mad_u64_u32 v[9:10], null, s7, v4, s[0:1]
	v_mul_lo_u32 v1, s7, v5
	v_mul_lo_u32 v4, s6, v4
	;; [unrolled: 1-line block ×4, first 2 shown]
	v_mad_u64_u32 v[2:3], null, s7, v2, 0
	v_add3_u32 v10, v4, v10, v1
	v_add3_u32 v3, v3, v11, v5
	v_mov_b32_e32 v4, v9
	v_mov_b32_e32 v5, v10
	s_branch .LBB0_3
.LBB0_6:
	s_inst_prefetch 0x2
	s_or_b32 exec_lo, exec_lo, s3
	v_add_co_u32 v1, vcc_lo, v4, v2
	v_add_co_ci_u32_e64 v2, null, v5, v3, vcc_lo
	v_mul_lo_u32 v3, 0x26f19d38, v1
	v_mul_lo_u32 v4, 0xe48e2825, v2
	v_mad_u64_u32 v[1:2], null, 0xe48e2825, v1, 1
	v_add3_u32 v2, v4, v2, v3
	v_and_b32_e32 v2, 0x7fffffff, v2
.LBB0_7:
	s_or_b32 exec_lo, exec_lo, s2
	v_mad_u64_u32 v[3:4], null, 0xe48e2825, v1, 1
	v_mul_lo_u32 v5, 0x26f19d38, v1
	v_mul_lo_u32 v6, 0xe48e2825, v2
	s_mov_b32 s0, 0xe48e2826
	s_mov_b32 s1, 0x26f19d38
	s_load_dwordx2 s[16:17], s[4:5], 0x0
	v_mul_lo_u32 v11, 0x26f19d38, v3
	v_add3_u32 v6, v6, v4, v5
	v_mad_u64_u32 v[4:5], null, 0xe48e2825, v3, 0
	v_mul_lo_u32 v12, 0xe48e2825, v6
	v_and_b32_e32 v9, 0x7fffffff, v6
	v_cvt_f64_u32_e32 v[6:7], v2
	v_add_co_u32 v16, vcc_lo, v4, 1
	v_cvt_f64_u32_e32 v[9:10], v9
	v_add3_u32 v2, v5, v11, v12
	v_mul_lo_u32 v5, 0x26f19d38, v4
	v_mad_u64_u32 v[11:12], null, 0xe48e2825, v4, s[0:1]
	v_cvt_f64_u32_e32 v[16:17], v16
	v_mul_lo_u32 v13, 0xe48e2825, v2
	v_add_co_ci_u32_e64 v4, null, 0, v2, vcc_lo
	v_cvt_f64_u32_e32 v[1:2], v1
	v_add3_u32 v12, v13, v12, v5
	v_and_b32_e32 v13, 0x7fffffff, v4
	v_cvt_f64_u32_e32 v[3:4], v3
	v_ldexp_f64 v[5:6], v[6:7], 32
	v_and_b32_e32 v7, 0x7fffffff, v12
	v_cvt_f64_u32_e32 v[12:13], v13
	v_ldexp_f64 v[9:10], v[9:10], 32
	v_cvt_f64_u32_e32 v[14:15], v7
	v_add_f64 v[1:2], v[5:6], v[1:2]
	v_ldexp_f64 v[5:6], v[12:13], 32
	v_add_f64 v[3:4], v[9:10], v[3:4]
	v_cvt_f64_u32_e32 v[9:10], v11
	v_ldexp_f64 v[11:12], v[14:15], 32
	v_ldexp_f64 v[1:2], v[1:2], 0xffffffc1
	v_add_f64 v[5:6], v[5:6], v[16:17]
	v_ldexp_f64 v[3:4], v[3:4], 0xffffffc1
	v_add_f64 v[10:11], v[11:12], v[9:10]
	v_cvt_f32_f64_e32 v7, v[1:2]
	v_ldexp_f64 v[1:2], v[5:6], 0xffffffc1
	v_cvt_f32_f64_e32 v9, v[3:4]
	v_ldexp_f64 v[3:4], v[10:11], 0xffffffc1
	v_cvt_f32_f64_e32 v13, v[1:2]
	v_cmp_gt_f32_e32 vcc_lo, v7, v9
	v_cvt_f32_f64_e32 v6, v[3:4]
	v_cndmask_b32_e32 v1, v9, v7, vcc_lo
	v_cndmask_b32_e32 v10, v7, v9, vcc_lo
	v_div_scale_f32 v14, null, v1, v1, v10
	v_div_scale_f32 v15, s0, v10, v1, v10
	v_rcp_f32_e32 v12, v14
	v_add_f32_e32 v16, v7, v13
	v_sub_f32_e32 v17, v7, v13
	v_mul_f32_e32 v18, v9, v6
	v_mul_f32_e32 v19, v7, v6
	v_fma_f32 v3, -v14, v12, 1.0
	v_cmp_gt_f32_e32 vcc_lo, v13, v6
	v_add_f32_e32 v20, v9, v6
	v_fma_f32 v22, v7, v13, -v18
	v_fmac_f32_e32 v19, v9, v13
	v_fmac_f32_e32 v12, v3, v12
	v_sub_f32_e32 v21, v9, v6
	v_cndmask_b32_e32 v4, v6, v13, vcc_lo
	v_add_f32_e32 v2, v13, v6
	v_cmp_gt_f32_e64 s7, |v22|, |v19|
	v_cndmask_b32_e32 v23, v13, v6, vcc_lo
	v_mul_f32_e32 v26, v15, v12
	v_cmp_gt_f32_e64 s3, |v16|, |v20|
	v_cmp_gt_f32_e64 s6, |v17|, |v21|
	v_cndmask_b32_e64 v11, |v19|, |v22|, s7
	v_cndmask_b32_e64 v33, |v22|, |v19|, s7
	v_div_scale_f32 v24, null, v2, v2, 1.0
	v_div_scale_f32 v27, null, v4, v4, v23
	v_fma_f32 v32, -v14, v26, v15
	v_div_scale_f32 v36, null, v11, v11, v33
	v_cndmask_b32_e64 v5, |v20|, |v16|, s3
	v_cndmask_b32_e64 v29, |v16|, |v20|, s3
	;; [unrolled: 1-line block ×4, first 2 shown]
	v_rcp_f32_e32 v31, v24
	v_rcp_f32_e32 v34, v27
	v_fmac_f32_e32 v26, v32, v12
	v_rcp_f32_e32 v32, v36
	v_div_scale_f32 v35, null, v5, v5, v29
	v_div_scale_f32 v37, null, v3, v3, v30
	v_fma_f32 v14, -v14, v26, v15
	v_rcp_f32_e32 v39, v35
	v_fma_f32 v43, -v24, v31, 1.0
	v_rcp_f32_e32 v40, v37
	v_fma_f32 v15, -v27, v34, 1.0
	v_fma_f32 v44, -v36, v32, 1.0
	v_div_scale_f32 v25, s1, 1.0, v2, 1.0
	v_div_scale_f32 v28, s2, v23, v4, v23
	v_div_scale_f32 v42, vcc_lo, v33, v11, v33
	v_fmac_f32_e32 v31, v43, v31
	v_fmac_f32_e32 v34, v15, v34
	;; [unrolled: 1-line block ×3, first 2 shown]
	v_fma_f32 v45, -v35, v39, 1.0
	v_fma_f32 v46, -v37, v40, 1.0
	v_mul_f32_e32 v15, v25, v31
	v_mul_f32_e32 v43, v28, v34
	;; [unrolled: 1-line block ×3, first 2 shown]
	v_div_scale_f32 v38, s3, v29, v5, v29
	v_fmac_f32_e32 v39, v45, v39
	v_div_scale_f32 v41, s6, v30, v3, v30
	v_fmac_f32_e32 v40, v46, v40
	v_fma_f32 v47, -v24, v15, v25
	v_fma_f32 v48, -v27, v43, v28
	;; [unrolled: 1-line block ×3, first 2 shown]
	v_mul_f32_e32 v45, v38, v39
	v_mul_f32_e32 v46, v41, v40
	v_fmac_f32_e32 v15, v47, v31
	v_fmac_f32_e32 v43, v48, v34
	;; [unrolled: 1-line block ×3, first 2 shown]
	v_fma_f32 v50, -v35, v45, v38
	v_fma_f32 v51, -v37, v46, v41
	;; [unrolled: 1-line block ×5, first 2 shown]
	v_fmac_f32_e32 v45, v50, v39
	v_fmac_f32_e32 v46, v51, v40
	;; [unrolled: 1-line block ×3, first 2 shown]
	v_cmp_eq_f32_e64 s4, 0, v5
	v_div_fmas_f32 v27, v27, v32, v44
	s_mov_b32 vcc_lo, s0
	v_fma_f32 v28, -v35, v45, v38
	v_div_fmas_f32 v26, v14, v12, v26
	s_mov_b32 vcc_lo, s2
	v_fma_f32 v35, -v37, v46, v41
	v_div_fmas_f32 v25, v25, v34, v43
	s_mov_b32 vcc_lo, s3
	v_sub_f32_e64 v14, -v6, v9
	v_div_fmas_f32 v28, v28, v39, v45
	s_mov_b32 vcc_lo, s6
	v_mul_f32_e32 v39, v17, v17
	v_div_fmas_f32 v32, v35, v40, v46
	s_mov_b32 vcc_lo, s1
	v_sub_f32_e32 v40, v6, v9
	v_div_fmas_f32 v12, v24, v31, v15
	v_add_f32_e32 v15, v7, v9
	v_add_f32_e64 v17, |v17|, |v21|
	v_cmp_eq_f32_e64 s6, 0, v11
	v_cmp_eq_f32_e64 s0, 0, v1
	v_div_fixup_f32 v24, v12, v2, 1.0
	v_max_f32_e32 v12, v1, v10
	v_div_fixup_f32 v10, v26, v1, v10
	v_cmp_eq_f32_e64 s2, 0, v4
	v_cmp_eq_f32_e64 s3, 0, v3
	v_mul_f32_e32 v31, v24, v13
	v_mul_f32_e32 v34, v24, v6
	v_cmp_lt_f32_e64 s1, 0x7f7fffff, v12
	v_mul_f32_e32 v12, v16, v16
	v_add_f32_e64 v16, |v16|, |v20|
	v_mul_f32_e32 v35, v31, v31
	v_add_f32_e64 v13, |v22|, |v19|
	v_mul_f32_e64 v9, v24, -v9
	v_fma_f32 v14, v20, v14, -v12
	v_fma_f32 v12, v21, v40, -v39
	v_fma_f32 v36, v34, v34, v35
	v_max_f32_e32 v21, v4, v23
	v_add_f32_e32 v22, v18, v18
	v_mul_f32_e64 v6, v24, -v6
	v_fma_f32 v10, v10, v10, 1.0
	v_div_scale_f32 v37, null, v36, v36, 1.0
	v_div_scale_f32 v20, vcc_lo, 1.0, v36, 1.0
	v_cmp_lt_f32_e64 s5, 0x7f7fffff, v21
	v_rcp_f32_e32 v38, v37
	v_max_f32_e32 v21, v5, v29
	v_fmac_f32_e32 v22, -2.0, v18
	v_fmac_f32_e32 v35, v6, v6
	v_max_f32_e32 v18, v11, v33
	v_max_f32_e32 v40, v3, v30
	v_cmp_lt_f32_e64 s8, 0x7f7fffff, v21
	v_cmp_gt_f32_e64 s9, 0x3a83126f, |v22|
	v_div_fixup_f32 v22, v25, v4, v23
	v_div_fixup_f32 v23, v28, v5, v29
	v_fma_f32 v41, -v37, v38, 1.0
	v_div_scale_f32 v29, null, v35, v35, 1.0
	v_div_fixup_f32 v25, v32, v3, v30
	v_fma_f32 v22, v22, v22, 1.0
	v_fmac_f32_e32 v38, v41, v38
	v_fma_f32 v23, v23, v23, 1.0
	v_mul_f32_e32 v30, 0x4f800000, v10
	v_fma_f32 v25, v25, v25, 1.0
	v_cmp_gt_f32_e64 s12, 0xf800000, v22
	v_mul_f32_e32 v19, v20, v38
	v_cmp_gt_f32_e64 s11, 0xf800000, v10
	v_cmp_gt_f32_e64 s14, 0xf800000, v23
	;; [unrolled: 1-line block ×3, first 2 shown]
	v_cmp_lt_f32_e64 s7, 0x7f7fffff, v40
	v_fma_f32 v39, -v37, v19, v20
	v_cndmask_b32_e64 v10, v10, v30, s11
	v_mul_f32_e32 v30, 0x4f800000, v25
	s_or_b32 s0, s1, s0
	v_fmac_f32_e32 v19, v39, v38
	v_mul_f32_e32 v39, v24, v7
	v_cndmask_b32_e64 v25, v25, v30, s15
	v_sqrt_f32_e32 v40, v10
	v_fma_f32 v7, -v37, v19, v20
	v_mul_f32_e32 v20, v39, v31
	v_mul_f32_e32 v31, v9, v31
	v_div_fmas_f32 v7, v7, v38, v19
	v_fma_f32 v19, v9, v34, v20
	v_fma_f32 v21, -v39, v34, v31
	v_fmac_f32_e32 v20, v9, v6
	v_fma_f32 v6, -v39, v6, v31
	v_div_fixup_f32 v34, v7, v36, 1.0
	v_cndmask_b32_e64 v7, 0, 1, s9
	v_cmp_lt_f32_e64 s9, 0x7f7fffff, v18
	v_div_fixup_f32 v18, v27, v11, v33
	v_mul_f32_e32 v33, 0x4f800000, v22
	v_mul_f32_e32 v19, v19, v34
	;; [unrolled: 1-line block ×3, first 2 shown]
	v_rcp_f32_e32 v34, v29
	v_fma_f32 v18, v18, v18, 1.0
	v_cndmask_b32_e64 v22, v22, v33, s12
	s_or_b32 s6, s9, s6
	v_cmp_gt_f32_e64 s10, |v19|, |v21|
	v_mul_f32_e32 v27, 0x4f800000, v18
	v_sqrt_f32_e32 v42, v22
	v_cndmask_b32_e64 v24, |v21|, |v19|, s10
	v_cndmask_b32_e64 v26, |v19|, |v21|, s10
	v_cmp_gt_f32_e64 s10, 0xf800000, v18
	v_fma_f32 v33, -v29, v34, 1.0
	v_div_scale_f32 v28, null, v24, v24, v26
	v_div_scale_f32 v37, vcc_lo, v26, v24, v26
	v_cndmask_b32_e64 v18, v18, v27, s10
	v_rcp_f32_e32 v32, v28
	v_mul_f32_e32 v27, 0x4f800000, v23
	v_fmac_f32_e32 v34, v33, v34
	v_sqrt_f32_e32 v33, v18
	v_cndmask_b32_e64 v23, v23, v27, s14
	v_fma_f32 v36, -v28, v32, 1.0
	v_sqrt_f32_e32 v9, v23
	v_add_nc_u32_e32 v31, -1, v33
	v_fmac_f32_e32 v32, v36, v32
	v_div_scale_f32 v36, s13, 1.0, v35, 1.0
	v_mul_f32_e32 v38, v37, v32
	v_mul_f32_e32 v27, v36, v34
	v_add_nc_u32_e32 v39, -1, v9
	v_fma_f32 v41, -v28, v38, v37
	v_fma_f32 v30, -v29, v27, v36
	v_fmac_f32_e32 v38, v41, v32
	v_fmac_f32_e32 v27, v30, v34
	v_sqrt_f32_e32 v30, v25
	v_fma_f32 v28, -v28, v38, v37
	v_fma_f32 v29, -v29, v27, v36
	;; [unrolled: 1-line block ×3, first 2 shown]
	v_add_nc_u32_e32 v36, -1, v42
	v_div_fmas_f32 v28, v28, v32, v38
	s_mov_b32 vcc_lo, s13
	v_add_nc_u32_e32 v32, -1, v40
	v_div_fmas_f32 v27, v29, v34, v27
	v_cmp_ge_f32_e32 vcc_lo, 0, v37
	v_add_nc_u32_e32 v29, 1, v33
	v_fma_f32 v46, -v36, v42, v22
	v_fma_f32 v41, -v32, v40, v10
	v_div_fixup_f32 v27, v27, v35, 1.0
	v_cndmask_b32_e32 v31, v33, v31, vcc_lo
	v_fma_f32 v38, -v29, v33, v18
	v_add_nc_u32_e32 v34, 1, v40
	v_cmp_ge_f32_e32 vcc_lo, 0, v41
	v_mul_f32_e32 v20, v20, v27
	v_mul_f32_e32 v6, v6, v27
	v_fma_f32 v33, -v39, v9, v23
	v_add_nc_u32_e32 v27, 1, v9
	v_cndmask_b32_e32 v32, v40, v32, vcc_lo
	v_cmp_ge_f32_e32 vcc_lo, 0, v46
	v_cmp_gt_f32_e64 s13, |v20|, |v6|
	v_fma_f32 v43, -v34, v40, v10
	v_add_nc_u32_e32 v44, -1, v30
	v_add_nc_u32_e32 v35, 1, v42
	v_cndmask_b32_e32 v36, v42, v36, vcc_lo
	v_cndmask_b32_e64 v48, |v6|, |v20|, s13
	v_cndmask_b32_e64 v49, |v20|, |v6|, s13
	v_cmp_lt_f32_e32 vcc_lo, 0, v38
	v_fma_f32 v37, -v27, v9, v23
	v_fma_f32 v40, -v44, v30, v25
	v_add_nc_u32_e32 v45, 1, v30
	v_div_scale_f32 v50, null, v48, v48, v49
	v_cndmask_b32_e32 v29, v31, v29, vcc_lo
	v_cmp_ge_f32_e32 vcc_lo, 0, v33
	v_fma_f32 v47, -v35, v42, v22
	v_rcp_f32_e32 v51, v50
	v_fma_f32 v41, -v45, v30, v25
	v_cmp_lt_f32_e64 s13, 0, v37
	v_cndmask_b32_e32 v9, v9, v39, vcc_lo
	v_cmp_lt_f32_e32 vcc_lo, 0, v43
	v_div_fixup_f32 v28, v28, v24, v26
	v_add_f32_e64 v6, |v20|, |v6|
	v_cndmask_b32_e64 v9, v9, v27, s13
	v_cndmask_b32_e32 v31, v32, v34, vcc_lo
	v_cmp_ge_f32_e32 vcc_lo, 0, v40
	v_fma_f32 v32, -v50, v51, 1.0
	v_cmp_lt_f32_e64 s13, 0, v41
	v_mul_f32_e32 v37, 0x37800000, v9
	v_mul_f32_e32 v27, 0x37800000, v31
	v_cndmask_b32_e32 v30, v30, v44, vcc_lo
	v_cmp_lt_f32_e32 vcc_lo, 0, v47
	v_fmac_f32_e32 v51, v32, v51
	v_mul_f32_e32 v32, 0x37800000, v29
	v_cndmask_b32_e64 v27, v31, v27, s11
	v_cndmask_b32_e64 v30, v30, v45, s13
	v_cndmask_b32_e32 v33, v36, v35, vcc_lo
	v_div_scale_f32 v34, vcc_lo, v49, v48, v49
	v_cndmask_b32_e64 v29, v29, v32, s10
	v_cmp_class_f32_e64 s10, v18, 0x260
	v_mul_f32_e32 v36, 0x37800000, v33
	v_mul_f32_e32 v35, v34, v51
	;; [unrolled: 1-line block ×3, first 2 shown]
	v_cndmask_b32_e64 v9, v9, v37, s14
	v_cndmask_b32_e64 v18, v29, v18, s10
	v_cmp_class_f32_e64 s10, v10, 0x260
	v_fma_f32 v32, -v50, v35, v34
	v_cndmask_b32_e64 v33, v33, v36, s12
	v_cndmask_b32_e64 v29, v30, v31, s15
	v_mul_f32_e32 v11, v11, v18
	v_cndmask_b32_e64 v10, v27, v10, s10
	v_fmac_f32_e32 v35, v32, v51
	v_fma_f32 v18, v28, v28, 1.0
	v_cndmask_b32_e64 v11, v11, v13, s6
	v_mul_f32_e32 v1, v1, v10
	v_fma_f32 v27, -v50, v35, v34
	v_mul_f32_e32 v10, 0x4f800000, v18
	v_cndmask_b32_e64 v1, v1, v15, s0
	v_div_fmas_f32 v27, v27, v51, v35
	v_cmp_class_f32_e64 vcc_lo, v22, 0x260
	s_or_b32 s0, s5, s2
	v_div_fixup_f32 v27, v27, v48, v49
	v_cndmask_b32_e32 v22, v33, v22, vcc_lo
	v_cmp_class_f32_e64 vcc_lo, v23, 0x260
	v_mul_f32_e32 v4, v4, v22
	v_cndmask_b32_e32 v9, v9, v23, vcc_lo
	v_cmp_class_f32_e64 vcc_lo, v25, 0x260
	v_fma_f32 v23, v27, v27, 1.0
	v_cndmask_b32_e64 v2, v4, v2, s0
	v_mul_f32_e32 v5, v5, v9
	v_cndmask_b32_e32 v25, v29, v25, vcc_lo
	v_cmp_gt_f32_e32 vcc_lo, 0xf800000, v18
	v_cmp_gt_f32_e64 s6, 0xf800000, v23
	s_or_b32 s0, s8, s4
	v_fma_f32 v1, -v1, v2, v11
	v_cndmask_b32_e64 v4, v5, v16, s0
	v_cndmask_b32_e32 v10, v18, v10, vcc_lo
	v_mul_f32_e32 v18, 0x4f800000, v23
	v_mul_f32_e32 v3, v3, v25
	s_or_b32 s0, s7, s3
	v_fmac_f32_e32 v14, v4, v4
	v_sqrt_f32_e32 v13, v10
	v_cndmask_b32_e64 v9, v23, v18, s6
	v_cndmask_b32_e64 v3, v3, v17, s0
	v_cmp_class_f32_e64 s1, v10, 0x260
	v_sqrt_f32_e32 v15, v9
	v_fmac_f32_e32 v12, v3, v3
	v_add_nc_u32_e32 v5, -1, v13
	v_add_nc_u32_e32 v4, 1, v13
	v_fma_f32 v11, -v5, v13, v10
	v_add_nc_u32_e32 v2, -1, v15
	v_add_nc_u32_e32 v3, 1, v15
	v_fma_f32 v17, -v4, v13, v10
	v_cmp_ge_f32_e64 s0, 0, v11
	v_fma_f32 v16, -v2, v15, v9
	v_fma_f32 v11, -v3, v15, v9
	v_cndmask_b32_e64 v5, v13, v5, s0
	v_cmp_ge_f32_e64 s0, 0, v16
	v_cndmask_b32_e64 v2, v15, v2, s0
	v_cmp_gt_f32_e64 s0, 0x3a83126f, |v1|
	v_cndmask_b32_e64 v1, 0, 1, s0
	v_cmp_lt_f32_e64 s0, 0, v17
	v_cndmask_b32_e64 v4, v5, v4, s0
	v_cmp_lt_f32_e64 s0, 0, v11
	v_max_f32_e32 v11, v24, v26
	v_mul_f32_e32 v5, 0x37800000, v4
	v_cndmask_b32_e64 v2, v2, v3, s0
	v_cmp_gt_f32_e64 s0, 0x3a83126f, |v14|
	v_add_f32_e64 v14, |v19|, |v21|
	v_cndmask_b32_e32 v4, v4, v5, vcc_lo
	v_mul_f32_e32 v13, 0x37800000, v2
	v_max_f32_e32 v5, v48, v49
	v_cndmask_b32_e64 v3, 0, 1, s0
	v_cmp_eq_f32_e64 s0, 0, v24
	v_cndmask_b32_e64 v4, v4, v10, s1
	v_cndmask_b32_e64 v2, v2, v13, s6
	v_cmp_class_f32_e64 s1, v9, 0x260
	v_cmp_lt_f32_e32 vcc_lo, 0x7f7fffff, v11
	v_cmp_lt_f32_e64 s2, 0x7f7fffff, v5
	v_mul_f32_e32 v4, v24, v4
	v_add_nc_u16 v3, v3, v7
	v_cndmask_b32_e64 v2, v2, v9, s1
	v_cmp_eq_f32_e64 s1, 0, v48
	s_or_b32 vcc_lo, vcc_lo, s0
	v_cmp_gt_f32_e64 s0, 0x3a83126f, |v12|
	v_cndmask_b32_e32 v4, v4, v14, vcc_lo
	v_mul_f32_e32 v2, v48, v2
	s_or_b32 vcc_lo, s2, s1
	v_add_nc_u16 v1, v3, v1
	v_cndmask_b32_e64 v5, 0, 1, s0
	v_cndmask_b32_e32 v2, v2, v6, vcc_lo
	s_waitcnt lgkmcnt(0)
	v_add_co_u32 v0, vcc_lo, s16, v0
	v_add_nc_u16 v1, v1, v5
	v_sub_f32_e32 v2, v4, v2
	v_cmp_gt_f32_e64 s0, 0x3a83126f, |v2|
	v_cndmask_b32_e64 v2, 0, 1, s0
	v_add_nc_u16 v2, v1, v2
	v_add_co_ci_u32_e64 v1, null, s17, v8, vcc_lo
	global_store_byte v[0:1], v2, off
.LBB0_8:
	s_endpgm
	.section	.rodata,"a",@progbits
	.p2align	6, 0x0
	.amdhsa_kernel _Z13complex_floatPci
		.amdhsa_group_segment_fixed_size 0
		.amdhsa_private_segment_fixed_size 0
		.amdhsa_kernarg_size 272
		.amdhsa_user_sgpr_count 6
		.amdhsa_user_sgpr_private_segment_buffer 1
		.amdhsa_user_sgpr_dispatch_ptr 0
		.amdhsa_user_sgpr_queue_ptr 0
		.amdhsa_user_sgpr_kernarg_segment_ptr 1
		.amdhsa_user_sgpr_dispatch_id 0
		.amdhsa_user_sgpr_flat_scratch_init 0
		.amdhsa_user_sgpr_private_segment_size 0
		.amdhsa_wavefront_size32 1
		.amdhsa_uses_dynamic_stack 0
		.amdhsa_system_sgpr_private_segment_wavefront_offset 0
		.amdhsa_system_sgpr_workgroup_id_x 1
		.amdhsa_system_sgpr_workgroup_id_y 0
		.amdhsa_system_sgpr_workgroup_id_z 0
		.amdhsa_system_sgpr_workgroup_info 0
		.amdhsa_system_vgpr_workitem_id 0
		.amdhsa_next_free_vgpr 52
		.amdhsa_next_free_sgpr 18
		.amdhsa_reserve_vcc 1
		.amdhsa_reserve_flat_scratch 0
		.amdhsa_float_round_mode_32 0
		.amdhsa_float_round_mode_16_64 0
		.amdhsa_float_denorm_mode_32 3
		.amdhsa_float_denorm_mode_16_64 3
		.amdhsa_dx10_clamp 1
		.amdhsa_ieee_mode 1
		.amdhsa_fp16_overflow 0
		.amdhsa_workgroup_processor_mode 1
		.amdhsa_memory_ordered 1
		.amdhsa_forward_progress 1
		.amdhsa_shared_vgpr_count 0
		.amdhsa_exception_fp_ieee_invalid_op 0
		.amdhsa_exception_fp_denorm_src 0
		.amdhsa_exception_fp_ieee_div_zero 0
		.amdhsa_exception_fp_ieee_overflow 0
		.amdhsa_exception_fp_ieee_underflow 0
		.amdhsa_exception_fp_ieee_inexact 0
		.amdhsa_exception_int_div_zero 0
	.end_amdhsa_kernel
	.text
.Lfunc_end0:
	.size	_Z13complex_floatPci, .Lfunc_end0-_Z13complex_floatPci
                                        ; -- End function
	.set _Z13complex_floatPci.num_vgpr, 52
	.set _Z13complex_floatPci.num_agpr, 0
	.set _Z13complex_floatPci.numbered_sgpr, 18
	.set _Z13complex_floatPci.num_named_barrier, 0
	.set _Z13complex_floatPci.private_seg_size, 0
	.set _Z13complex_floatPci.uses_vcc, 1
	.set _Z13complex_floatPci.uses_flat_scratch, 0
	.set _Z13complex_floatPci.has_dyn_sized_stack, 0
	.set _Z13complex_floatPci.has_recursion, 0
	.set _Z13complex_floatPci.has_indirect_call, 0
	.section	.AMDGPU.csdata,"",@progbits
; Kernel info:
; codeLenInByte = 3212
; TotalNumSgprs: 20
; NumVgprs: 52
; ScratchSize: 0
; MemoryBound: 0
; FloatMode: 240
; IeeeMode: 1
; LDSByteSize: 0 bytes/workgroup (compile time only)
; SGPRBlocks: 0
; VGPRBlocks: 6
; NumSGPRsForWavesPerEU: 20
; NumVGPRsForWavesPerEU: 52
; Occupancy: 16
; WaveLimiterHint : 0
; COMPUTE_PGM_RSRC2:SCRATCH_EN: 0
; COMPUTE_PGM_RSRC2:USER_SGPR: 6
; COMPUTE_PGM_RSRC2:TRAP_HANDLER: 0
; COMPUTE_PGM_RSRC2:TGID_X_EN: 1
; COMPUTE_PGM_RSRC2:TGID_Y_EN: 0
; COMPUTE_PGM_RSRC2:TGID_Z_EN: 0
; COMPUTE_PGM_RSRC2:TIDIG_COMP_CNT: 0
	.text
	.protected	_Z14complex_doublePci   ; -- Begin function _Z14complex_doublePci
	.globl	_Z14complex_doublePci
	.p2align	8
	.type	_Z14complex_doublePci,@function
_Z14complex_doublePci:                  ; @_Z14complex_doublePci
; %bb.0:
	s_clause 0x1
	s_load_dword s0, s[4:5], 0x1c
	s_load_dword s1, s[4:5], 0x8
	s_waitcnt lgkmcnt(0)
	s_and_b32 s0, s0, 0xffff
	v_mad_u64_u32 v[0:1], null, s6, s0, v[0:1]
	s_mov_b32 s0, exec_lo
	v_cmpx_gt_i32_e64 s1, v0
	s_cbranch_execz .LBB1_8
; %bb.1:
	v_ashrrev_i32_e32 v19, 31, v0
	v_mov_b32_e32 v1, 0xe48e2826
	v_mov_b32_e32 v2, 0x26f19d38
	s_mov_b32 s3, 0
	s_mov_b32 s6, 0x26f19d38
	s_mov_b32 s2, exec_lo
	v_cmpx_ne_u32_e32 0, v0
	s_cbranch_execz .LBB1_7
; %bb.2:
	v_and_b32_e32 v1, 0x7fffffff, v19
	v_mov_b32_e32 v2, 1
	v_mov_b32_e32 v4, 0
	v_mov_b32_e32 v3, 0
	v_mov_b32_e32 v5, 0
	v_mov_b32_e32 v7, v1
	v_mov_b32_e32 v6, v0
	s_mov_b32 s7, 0xe48e2825
	s_mov_b64 s[0:1], 1
	s_inst_prefetch 0x1
	s_branch .LBB1_4
	.p2align	6
.LBB1_3:                                ;   in Loop: Header=BB1_4 Depth=1
	s_or_b32 exec_lo, exec_lo, s8
	s_add_u32 s8, s7, 1
	v_lshrrev_b64 v[8:9], 1, v[6:7]
	s_addc_u32 s9, s6, 0
	s_mul_i32 s1, s8, s1
	s_mul_hi_u32 s10, s8, s0
	s_mul_i32 s9, s9, s0
	s_add_i32 s1, s10, s1
	v_cmp_gt_u64_e32 vcc_lo, 2, v[6:7]
	s_add_i32 s1, s1, s9
	s_mul_i32 s6, s7, s6
	s_mul_hi_u32 s9, s7, s7
	v_mov_b32_e32 v6, v8
	s_mul_i32 s0, s8, s0
	s_add_i32 s8, s9, s6
	v_mov_b32_e32 v7, v9
	s_add_i32 s6, s8, s6
	s_or_b32 s3, vcc_lo, s3
	s_mul_i32 s7, s7, s7
	s_andn2_b32 exec_lo, exec_lo, s3
	s_cbranch_execz .LBB1_6
.LBB1_4:                                ; =>This Inner Loop Header: Depth=1
	v_and_b32_e32 v1, 1, v6
	s_mov_b32 s8, exec_lo
	v_cmpx_eq_u32_e32 1, v1
	s_cbranch_execz .LBB1_3
; %bb.5:                                ;   in Loop: Header=BB1_4 Depth=1
	v_mad_u64_u32 v[8:9], null, s7, v4, s[0:1]
	v_mul_lo_u32 v1, s7, v5
	v_mul_lo_u32 v4, s6, v4
	;; [unrolled: 1-line block ×4, first 2 shown]
	v_mad_u64_u32 v[2:3], null, s7, v2, 0
	v_add3_u32 v9, v4, v9, v1
	v_add3_u32 v3, v3, v10, v5
	v_mov_b32_e32 v4, v8
	v_mov_b32_e32 v5, v9
	s_branch .LBB1_3
.LBB1_6:
	s_inst_prefetch 0x2
	s_or_b32 exec_lo, exec_lo, s3
	v_add_co_u32 v1, vcc_lo, v4, v2
	v_add_co_ci_u32_e64 v2, null, v5, v3, vcc_lo
	v_mul_lo_u32 v3, 0x26f19d38, v1
	v_mul_lo_u32 v4, 0xe48e2825, v2
	v_mad_u64_u32 v[1:2], null, 0xe48e2825, v1, 1
	v_add3_u32 v2, v4, v2, v3
	v_and_b32_e32 v2, 0x7fffffff, v2
.LBB1_7:
	s_or_b32 exec_lo, exec_lo, s2
	v_cvt_f64_u32_e32 v[3:4], v2
	v_cvt_f64_u32_e32 v[5:6], v1
	v_mad_u64_u32 v[7:8], null, 0xe48e2825, v1, 1
	v_mul_lo_u32 v1, 0x26f19d38, v1
	v_mul_lo_u32 v2, 0xe48e2825, v2
	s_mov_b32 s0, 0xe48e2826
	s_mov_b32 s1, 0x26f19d38
	s_load_dwordx2 s[2:3], s[4:5], 0x0
	s_mov_b32 s4, -1
	v_mul_lo_u32 v13, 0x26f19d38, v7
	s_mov_b32 s5, 0x7fefffff
	s_mov_b32 s6, 0xd2f1a9fc
	v_add3_u32 v8, v2, v8, v1
	s_mov_b32 s7, 0x3f50624d
	v_and_b32_e32 v1, 0x7fffffff, v8
	v_mul_lo_u32 v8, 0xe48e2825, v8
	v_ldexp_f64 v[3:4], v[3:4], 32
	v_cvt_f64_u32_e32 v[1:2], v1
	v_add_f64 v[9:10], v[3:4], v[5:6]
	v_ldexp_f64 v[1:2], v[1:2], 32
	v_cvt_f64_u32_e32 v[5:6], v7
	v_ldexp_f64 v[3:4], v[9:10], 0xffffffc1
	v_add_f64 v[11:12], v[1:2], v[5:6]
	v_mad_u64_u32 v[1:2], null, 0xe48e2825, v7, 0
	v_add3_u32 v2, v2, v13, v8
	v_add_co_u32 v13, vcc_lo, v1, 1
	v_add_co_ci_u32_e64 v7, null, 0, v2, vcc_lo
	v_cvt_f64_u32_e32 v[13:14], v13
	v_and_b32_e32 v7, 0x7fffffff, v7
	v_ldexp_f64 v[5:6], v[11:12], 0xffffffc1
	v_cvt_f64_u32_e32 v[7:8], v7
	v_ldexp_f64 v[7:8], v[7:8], 32
	v_add_f64 v[7:8], v[7:8], v[13:14]
	v_mul_lo_u32 v13, 0xe48e2825, v2
	v_mul_lo_u32 v14, 0x26f19d38, v1
	v_mad_u64_u32 v[1:2], null, 0xe48e2825, v1, s[0:1]
	v_add3_u32 v2, v13, v2, v14
	v_and_b32_e32 v2, 0x7fffffff, v2
	v_cvt_f64_u32_e32 v[13:14], v2
	v_cvt_f64_u32_e32 v[1:2], v1
	v_ldexp_f64 v[7:8], v[7:8], 0xffffffc1
	v_ldexp_f64 v[13:14], v[13:14], 32
	v_add_f64 v[13:14], v[13:14], v[1:2]
	v_ldexp_f64 v[1:2], v[13:14], 0xffffffc1
	v_mul_f64 v[15:16], v[5:6], v[1:2]
	v_mul_f64 v[20:21], v[3:4], v[1:2]
	v_fma_f64 v[17:18], v[3:4], v[7:8], -v[15:16]
	v_fma_f64 v[20:21], v[5:6], v[7:8], v[20:21]
	v_and_b32_e32 v24, 0x7fffffff, v18
	v_cmp_gt_f64_e64 vcc_lo, |v[17:18]|, |v[20:21]|
	v_and_b32_e32 v25, 0x7fffffff, v21
	v_cndmask_b32_e32 v23, v25, v24, vcc_lo
	v_cndmask_b32_e32 v22, v20, v17, vcc_lo
	;; [unrolled: 1-line block ×4, first 2 shown]
	v_add_f64 v[17:18], |v[17:18]|, |v[20:21]|
	v_div_scale_f64 v[26:27], null, v[22:23], v[22:23], v[24:25]
	v_rcp_f64_e32 v[28:29], v[26:27]
	v_fma_f64 v[30:31], -v[26:27], v[28:29], 1.0
	v_fma_f64 v[28:29], v[28:29], v[30:31], v[28:29]
	v_fma_f64 v[30:31], -v[26:27], v[28:29], 1.0
	v_fma_f64 v[28:29], v[28:29], v[30:31], v[28:29]
	v_div_scale_f64 v[30:31], vcc_lo, v[24:25], v[22:23], v[24:25]
	v_mul_f64 v[32:33], v[30:31], v[28:29]
	v_fma_f64 v[26:27], -v[26:27], v[32:33], v[30:31]
	v_div_fmas_f64 v[26:27], v[26:27], v[28:29], v[32:33]
	v_div_fixup_f64 v[26:27], v[26:27], v[22:23], v[24:25]
	v_fma_f64 v[26:27], v[26:27], v[26:27], 1.0
	v_cmp_gt_f64_e32 vcc_lo, 0x10000000, v[26:27]
	v_cndmask_b32_e64 v28, 0, 0x100, vcc_lo
	v_ldexp_f64 v[26:27], v[26:27], v28
	v_rsq_f64_e32 v[28:29], v[26:27]
	v_mul_f64 v[30:31], v[26:27], v[28:29]
	v_mul_f64 v[28:29], v[28:29], 0.5
	v_fma_f64 v[32:33], -v[28:29], v[30:31], 0.5
	v_fma_f64 v[30:31], v[30:31], v[32:33], v[30:31]
	v_fma_f64 v[28:29], v[28:29], v[32:33], v[28:29]
	v_fma_f64 v[34:35], -v[30:31], v[30:31], v[26:27]
	v_fma_f64 v[30:31], v[34:35], v[28:29], v[30:31]
	v_fma_f64 v[32:33], -v[30:31], v[30:31], v[26:27]
	v_fma_f64 v[28:29], v[32:33], v[28:29], v[30:31]
	v_cndmask_b32_e64 v30, 0, 0xffffff80, vcc_lo
	v_cmp_class_f64_e64 vcc_lo, v[26:27], 0x260
	v_ldexp_f64 v[28:29], v[28:29], v30
	v_cndmask_b32_e32 v27, v29, v27, vcc_lo
	v_cndmask_b32_e32 v26, v28, v26, vcc_lo
	v_cmp_eq_f64_e32 vcc_lo, 0, v[22:23]
	v_mul_f64 v[26:27], v[22:23], v[26:27]
	v_max_f64 v[22:23], v[22:23], v[24:25]
	v_cmp_lt_f64_e64 s0, s[4:5], v[22:23]
	s_or_b32 vcc_lo, s0, vcc_lo
	v_cndmask_b32_e32 v21, v27, v18, vcc_lo
	v_cndmask_b32_e32 v20, v26, v17, vcc_lo
	v_cmp_gt_f64_e32 vcc_lo, v[3:4], v[5:6]
	v_cndmask_b32_e32 v18, v6, v4, vcc_lo
	v_cndmask_b32_e32 v17, v5, v3, vcc_lo
	;; [unrolled: 1-line block ×4, first 2 shown]
	v_div_scale_f64 v[24:25], null, v[17:18], v[17:18], v[22:23]
	v_rcp_f64_e32 v[26:27], v[24:25]
	v_fma_f64 v[28:29], -v[24:25], v[26:27], 1.0
	v_fma_f64 v[26:27], v[26:27], v[28:29], v[26:27]
	v_fma_f64 v[28:29], -v[24:25], v[26:27], 1.0
	v_fma_f64 v[26:27], v[26:27], v[28:29], v[26:27]
	v_div_scale_f64 v[28:29], vcc_lo, v[22:23], v[17:18], v[22:23]
	v_mul_f64 v[30:31], v[28:29], v[26:27]
	v_fma_f64 v[24:25], -v[24:25], v[30:31], v[28:29]
	v_div_fmas_f64 v[24:25], v[24:25], v[26:27], v[30:31]
	v_div_fixup_f64 v[24:25], v[24:25], v[17:18], v[22:23]
	v_fma_f64 v[24:25], v[24:25], v[24:25], 1.0
	v_cmp_gt_f64_e32 vcc_lo, 0x10000000, v[24:25]
	v_cndmask_b32_e64 v26, 0, 0x100, vcc_lo
	v_ldexp_f64 v[24:25], v[24:25], v26
	v_rsq_f64_e32 v[26:27], v[24:25]
	v_mul_f64 v[28:29], v[24:25], v[26:27]
	v_mul_f64 v[26:27], v[26:27], 0.5
	v_fma_f64 v[30:31], -v[26:27], v[28:29], 0.5
	v_fma_f64 v[28:29], v[28:29], v[30:31], v[28:29]
	v_fma_f64 v[26:27], v[26:27], v[30:31], v[26:27]
	v_fma_f64 v[32:33], -v[28:29], v[28:29], v[24:25]
	v_fma_f64 v[28:29], v[32:33], v[26:27], v[28:29]
	v_fma_f64 v[30:31], -v[28:29], v[28:29], v[24:25]
	v_fma_f64 v[26:27], v[30:31], v[26:27], v[28:29]
	v_cndmask_b32_e64 v28, 0, 0xffffff80, vcc_lo
	v_cmp_class_f64_e64 vcc_lo, v[24:25], 0x260
	v_ldexp_f64 v[26:27], v[26:27], v28
	v_cndmask_b32_e32 v25, v27, v25, vcc_lo
	v_cndmask_b32_e32 v24, v26, v24, vcc_lo
	v_cmp_eq_f64_e32 vcc_lo, 0, v[17:18]
	v_mul_f64 v[24:25], v[17:18], v[24:25]
	v_max_f64 v[17:18], v[17:18], v[22:23]
	v_cmp_lt_f64_e64 s0, s[4:5], v[17:18]
	v_fma_f64 v[17:18], 0x3c000000, v[11:12], v[3:4]
	s_or_b32 vcc_lo, s0, vcc_lo
	v_cndmask_b32_e32 v23, v25, v18, vcc_lo
	v_cndmask_b32_e32 v22, v24, v17, vcc_lo
	v_cmp_gt_f64_e32 vcc_lo, v[7:8], v[1:2]
	v_cndmask_b32_e32 v18, v2, v8, vcc_lo
	v_cndmask_b32_e32 v17, v1, v7, vcc_lo
	;; [unrolled: 1-line block ×4, first 2 shown]
	v_div_scale_f64 v[26:27], null, v[17:18], v[17:18], v[24:25]
	v_rcp_f64_e32 v[28:29], v[26:27]
	v_fma_f64 v[30:31], -v[26:27], v[28:29], 1.0
	v_fma_f64 v[28:29], v[28:29], v[30:31], v[28:29]
	v_fma_f64 v[30:31], -v[26:27], v[28:29], 1.0
	v_fma_f64 v[28:29], v[28:29], v[30:31], v[28:29]
	v_div_scale_f64 v[30:31], vcc_lo, v[24:25], v[17:18], v[24:25]
	v_mul_f64 v[32:33], v[30:31], v[28:29]
	v_fma_f64 v[26:27], -v[26:27], v[32:33], v[30:31]
	v_div_fmas_f64 v[26:27], v[26:27], v[28:29], v[32:33]
	v_div_fixup_f64 v[26:27], v[26:27], v[17:18], v[24:25]
	v_fma_f64 v[26:27], v[26:27], v[26:27], 1.0
	v_cmp_gt_f64_e32 vcc_lo, 0x10000000, v[26:27]
	v_cndmask_b32_e64 v28, 0, 0x100, vcc_lo
	v_ldexp_f64 v[26:27], v[26:27], v28
	v_rsq_f64_e32 v[28:29], v[26:27]
	v_mul_f64 v[30:31], v[26:27], v[28:29]
	v_mul_f64 v[28:29], v[28:29], 0.5
	v_fma_f64 v[32:33], -v[28:29], v[30:31], 0.5
	v_fma_f64 v[30:31], v[30:31], v[32:33], v[30:31]
	v_fma_f64 v[28:29], v[28:29], v[32:33], v[28:29]
	v_fma_f64 v[34:35], -v[30:31], v[30:31], v[26:27]
	v_fma_f64 v[30:31], v[34:35], v[28:29], v[30:31]
	v_fma_f64 v[32:33], -v[30:31], v[30:31], v[26:27]
	v_fma_f64 v[28:29], v[32:33], v[28:29], v[30:31]
	v_cndmask_b32_e64 v30, 0, 0xffffff80, vcc_lo
	v_cmp_class_f64_e64 vcc_lo, v[26:27], 0x260
	v_ldexp_f64 v[28:29], v[28:29], v30
	v_cndmask_b32_e32 v27, v29, v27, vcc_lo
	v_cndmask_b32_e32 v26, v28, v26, vcc_lo
	v_cmp_eq_f64_e32 vcc_lo, 0, v[17:18]
	v_mul_f64 v[26:27], v[17:18], v[26:27]
	v_max_f64 v[17:18], v[17:18], v[24:25]
	v_cmp_lt_f64_e64 s0, s[4:5], v[17:18]
	v_fma_f64 v[17:18], 0x3c000000, v[13:14], v[7:8]
	v_fma_f64 v[13:14], 0x3c000000, v[13:14], -v[5:6]
	s_or_b32 vcc_lo, s0, vcc_lo
	v_cndmask_b32_e32 v25, v27, v18, vcc_lo
	v_cndmask_b32_e32 v24, v26, v17, vcc_lo
	v_fma_f64 v[20:21], -v[22:23], v[24:25], v[20:21]
	v_fma_f64 v[22:23], 0x3c000000, v[11:12], v[1:2]
	v_cmp_lt_f64_e64 s1, |v[20:21]|, s[6:7]
	v_fma_f64 v[20:21], 0x3c000000, v[9:10], v[7:8]
	v_and_b32_e32 v27, 0x7fffffff, v23
	v_fma_f64 v[9:10], 0x3c000000, v[9:10], -v[7:8]
	v_cmp_gt_f64_e64 vcc_lo, |v[20:21]|, |v[22:23]|
	v_and_b32_e32 v26, 0x7fffffff, v21
	v_cndmask_b32_e32 v25, v27, v26, vcc_lo
	v_cndmask_b32_e32 v24, v22, v20, vcc_lo
	;; [unrolled: 1-line block ×4, first 2 shown]
	v_div_scale_f64 v[28:29], null, v[24:25], v[24:25], v[26:27]
	v_rcp_f64_e32 v[30:31], v[28:29]
	v_fma_f64 v[32:33], -v[28:29], v[30:31], 1.0
	v_fma_f64 v[30:31], v[30:31], v[32:33], v[30:31]
	v_fma_f64 v[32:33], -v[28:29], v[30:31], 1.0
	v_fma_f64 v[30:31], v[30:31], v[32:33], v[30:31]
	v_div_scale_f64 v[32:33], vcc_lo, v[26:27], v[24:25], v[26:27]
	v_mul_f64 v[34:35], v[32:33], v[30:31]
	v_fma_f64 v[28:29], -v[28:29], v[34:35], v[32:33]
	v_div_fmas_f64 v[28:29], v[28:29], v[30:31], v[34:35]
	v_div_fixup_f64 v[28:29], v[28:29], v[24:25], v[26:27]
	v_fma_f64 v[28:29], v[28:29], v[28:29], 1.0
	v_cmp_gt_f64_e32 vcc_lo, 0x10000000, v[28:29]
	v_cndmask_b32_e64 v30, 0, 0x100, vcc_lo
	v_ldexp_f64 v[28:29], v[28:29], v30
	v_rsq_f64_e32 v[30:31], v[28:29]
	v_mul_f64 v[32:33], v[28:29], v[30:31]
	v_mul_f64 v[30:31], v[30:31], 0.5
	v_fma_f64 v[34:35], -v[30:31], v[32:33], 0.5
	v_fma_f64 v[32:33], v[32:33], v[34:35], v[32:33]
	v_fma_f64 v[30:31], v[30:31], v[34:35], v[30:31]
	v_fma_f64 v[36:37], -v[32:33], v[32:33], v[28:29]
	v_fma_f64 v[32:33], v[36:37], v[30:31], v[32:33]
	v_fma_f64 v[34:35], -v[32:33], v[32:33], v[28:29]
	v_fma_f64 v[30:31], v[34:35], v[30:31], v[32:33]
	v_cndmask_b32_e64 v32, 0, 0xffffff80, vcc_lo
	v_cmp_class_f64_e64 vcc_lo, v[28:29], 0x260
	v_ldexp_f64 v[30:31], v[30:31], v32
	v_cndmask_b32_e32 v29, v31, v29, vcc_lo
	v_cndmask_b32_e32 v28, v30, v28, vcc_lo
	v_cmp_eq_f64_e32 vcc_lo, 0, v[24:25]
	v_mul_f64 v[28:29], v[24:25], v[28:29]
	v_max_f64 v[24:25], v[24:25], v[26:27]
	v_fma_f64 v[26:27], 0xbc000000, v[11:12], -v[1:2]
	v_fma_f64 v[11:12], 0x3c000000, v[11:12], -v[1:2]
	v_cmp_lt_f64_e64 s0, s[4:5], v[24:25]
	v_add_f64 v[24:25], |v[20:21]|, |v[22:23]|
	v_mul_f64 v[20:21], v[20:21], v[20:21]
	s_or_b32 vcc_lo, s0, vcc_lo
	v_fma_f64 v[20:21], v[22:23], v[26:27], -v[20:21]
	v_cndmask_b32_e32 v25, v29, v25, vcc_lo
	v_cndmask_b32_e32 v24, v28, v24, vcc_lo
	v_cmp_gt_f64_e64 vcc_lo, |v[9:10]|, |v[11:12]|
	v_fma_f64 v[20:21], v[24:25], v[24:25], v[20:21]
	v_and_b32_e32 v24, 0x7fffffff, v10
	v_and_b32_e32 v25, 0x7fffffff, v12
	v_cndmask_b32_e32 v22, v11, v9, vcc_lo
	v_cndmask_b32_e32 v23, v25, v24, vcc_lo
	;; [unrolled: 1-line block ×4, first 2 shown]
	v_div_scale_f64 v[26:27], null, v[22:23], v[22:23], v[24:25]
	v_cmp_lt_f64_e64 s0, |v[20:21]|, s[6:7]
	v_cndmask_b32_e64 v20, 0, 1, s1
	v_rcp_f64_e32 v[28:29], v[26:27]
	v_cndmask_b32_e64 v21, 0, 1, s0
	v_fma_f64 v[30:31], -v[26:27], v[28:29], 1.0
	v_fma_f64 v[28:29], v[28:29], v[30:31], v[28:29]
	v_fma_f64 v[30:31], -v[26:27], v[28:29], 1.0
	v_fma_f64 v[28:29], v[28:29], v[30:31], v[28:29]
	v_div_scale_f64 v[30:31], vcc_lo, v[24:25], v[22:23], v[24:25]
	v_mul_f64 v[32:33], v[30:31], v[28:29]
	v_fma_f64 v[26:27], -v[26:27], v[32:33], v[30:31]
	v_div_fmas_f64 v[26:27], v[26:27], v[28:29], v[32:33]
	v_div_fixup_f64 v[26:27], v[26:27], v[22:23], v[24:25]
	v_fma_f64 v[26:27], v[26:27], v[26:27], 1.0
	v_cmp_gt_f64_e32 vcc_lo, 0x10000000, v[26:27]
	v_cndmask_b32_e64 v28, 0, 0x100, vcc_lo
	v_ldexp_f64 v[26:27], v[26:27], v28
	v_rsq_f64_e32 v[28:29], v[26:27]
	v_mul_f64 v[30:31], v[26:27], v[28:29]
	v_mul_f64 v[28:29], v[28:29], 0.5
	v_fma_f64 v[32:33], -v[28:29], v[30:31], 0.5
	v_fma_f64 v[30:31], v[30:31], v[32:33], v[30:31]
	v_fma_f64 v[28:29], v[28:29], v[32:33], v[28:29]
	v_fma_f64 v[34:35], -v[30:31], v[30:31], v[26:27]
	v_fma_f64 v[30:31], v[34:35], v[28:29], v[30:31]
	v_fma_f64 v[32:33], -v[30:31], v[30:31], v[26:27]
	v_fma_f64 v[28:29], v[32:33], v[28:29], v[30:31]
	v_cndmask_b32_e64 v30, 0, 0xffffff80, vcc_lo
	v_cmp_class_f64_e64 vcc_lo, v[26:27], 0x260
	v_ldexp_f64 v[28:29], v[28:29], v30
	v_cndmask_b32_e32 v27, v29, v27, vcc_lo
	v_cndmask_b32_e32 v26, v28, v26, vcc_lo
	v_cmp_eq_f64_e32 vcc_lo, 0, v[22:23]
	v_mul_f64 v[26:27], v[22:23], v[26:27]
	v_max_f64 v[22:23], v[22:23], v[24:25]
	v_cmp_lt_f64_e64 s0, s[4:5], v[22:23]
	v_add_f64 v[22:23], |v[9:10]|, |v[11:12]|
	v_mul_f64 v[9:10], v[9:10], v[9:10]
	s_or_b32 vcc_lo, s0, vcc_lo
	v_fma_f64 v[9:10], v[11:12], v[13:14], -v[9:10]
	v_cndmask_b32_e32 v23, v27, v23, vcc_lo
	v_cndmask_b32_e32 v22, v26, v22, vcc_lo
	v_fma_f64 v[9:10], v[22:23], v[22:23], v[9:10]
	v_cmp_lt_f64_e64 s0, |v[9:10]|, s[6:7]
	v_fma_f64 v[10:11], v[3:4], v[7:8], v[15:16]
	v_cndmask_b32_e64 v9, 0, 1, s0
	v_add_f64 v[12:13], v[10:11], v[10:11]
	v_fma_f64 v[10:11], v[10:11], -2.0, v[12:13]
	v_cmp_lt_f64_e64 s0, |v[10:11]|, s[6:7]
	v_div_scale_f64 v[11:12], null, v[17:18], v[17:18], 1.0
	v_cndmask_b32_e64 v10, 0, 1, s0
	v_rcp_f64_e32 v[13:14], v[11:12]
	v_fma_f64 v[15:16], -v[11:12], v[13:14], 1.0
	v_fma_f64 v[13:14], v[13:14], v[15:16], v[13:14]
	v_fma_f64 v[15:16], -v[11:12], v[13:14], 1.0
	v_fma_f64 v[13:14], v[13:14], v[15:16], v[13:14]
	v_div_scale_f64 v[15:16], vcc_lo, 1.0, v[17:18], 1.0
	v_mul_f64 v[22:23], v[15:16], v[13:14]
	v_fma_f64 v[11:12], -v[11:12], v[22:23], v[15:16]
	v_div_fmas_f64 v[11:12], v[11:12], v[13:14], v[22:23]
	v_div_fixup_f64 v[11:12], v[11:12], v[17:18], 1.0
	v_mul_f64 v[7:8], v[7:8], v[11:12]
	v_mul_f64 v[13:14], v[1:2], v[11:12]
	;; [unrolled: 1-line block ×3, first 2 shown]
	v_mul_f64 v[5:6], v[11:12], -v[5:6]
	v_mul_f64 v[1:2], v[11:12], -v[1:2]
	v_mul_f64 v[15:16], v[7:8], v[7:8]
	v_fma_f64 v[17:18], v[13:14], v[13:14], v[15:16]
	v_fma_f64 v[11:12], v[1:2], v[1:2], v[15:16]
	v_div_scale_f64 v[22:23], null, v[17:18], v[17:18], 1.0
	v_div_scale_f64 v[15:16], null, v[11:12], v[11:12], 1.0
	v_rcp_f64_e32 v[24:25], v[22:23]
	v_fma_f64 v[26:27], -v[22:23], v[24:25], 1.0
	v_fma_f64 v[24:25], v[24:25], v[26:27], v[24:25]
	v_fma_f64 v[26:27], -v[22:23], v[24:25], 1.0
	v_fma_f64 v[24:25], v[24:25], v[26:27], v[24:25]
	v_div_scale_f64 v[26:27], vcc_lo, 1.0, v[17:18], 1.0
	v_mul_f64 v[28:29], v[26:27], v[24:25]
	v_fma_f64 v[22:23], -v[22:23], v[28:29], v[26:27]
	v_div_fmas_f64 v[22:23], v[22:23], v[24:25], v[28:29]
	v_div_fixup_f64 v[17:18], v[22:23], v[17:18], 1.0
	v_mul_f64 v[22:23], v[3:4], v[7:8]
	v_mul_f64 v[7:8], v[5:6], v[7:8]
	v_fma_f64 v[24:25], v[5:6], v[13:14], v[22:23]
	v_fma_f64 v[13:14], -v[3:4], v[13:14], v[7:8]
	v_fma_f64 v[5:6], v[5:6], v[1:2], v[22:23]
	v_fma_f64 v[1:2], -v[3:4], v[1:2], v[7:8]
	v_mul_f64 v[24:25], v[24:25], v[17:18]
	v_mul_f64 v[13:14], v[13:14], v[17:18]
	v_and_b32_e32 v26, 0x7fffffff, v25
	v_cmp_gt_f64_e64 vcc_lo, |v[24:25]|, |v[13:14]|
	v_and_b32_e32 v27, 0x7fffffff, v14
	v_cndmask_b32_e32 v18, v27, v26, vcc_lo
	v_cndmask_b32_e32 v17, v13, v24, vcc_lo
	;; [unrolled: 1-line block ×4, first 2 shown]
	v_add_f64 v[13:14], |v[24:25]|, |v[13:14]|
	v_div_scale_f64 v[28:29], null, v[17:18], v[17:18], v[26:27]
	v_rcp_f64_e32 v[30:31], v[28:29]
	v_fma_f64 v[32:33], -v[28:29], v[30:31], 1.0
	v_fma_f64 v[30:31], v[30:31], v[32:33], v[30:31]
	v_fma_f64 v[32:33], -v[28:29], v[30:31], 1.0
	v_fma_f64 v[30:31], v[30:31], v[32:33], v[30:31]
	v_div_scale_f64 v[32:33], vcc_lo, v[26:27], v[17:18], v[26:27]
	v_mul_f64 v[34:35], v[32:33], v[30:31]
	v_fma_f64 v[28:29], -v[28:29], v[34:35], v[32:33]
	v_div_fmas_f64 v[28:29], v[28:29], v[30:31], v[34:35]
	v_div_fixup_f64 v[28:29], v[28:29], v[17:18], v[26:27]
	v_fma_f64 v[28:29], v[28:29], v[28:29], 1.0
	v_cmp_gt_f64_e32 vcc_lo, 0x10000000, v[28:29]
	v_cndmask_b32_e64 v30, 0, 0x100, vcc_lo
	v_ldexp_f64 v[28:29], v[28:29], v30
	v_rsq_f64_e32 v[30:31], v[28:29]
	v_mul_f64 v[32:33], v[28:29], v[30:31]
	v_mul_f64 v[30:31], v[30:31], 0.5
	v_fma_f64 v[34:35], -v[30:31], v[32:33], 0.5
	v_fma_f64 v[32:33], v[32:33], v[34:35], v[32:33]
	v_fma_f64 v[30:31], v[30:31], v[34:35], v[30:31]
	v_fma_f64 v[36:37], -v[32:33], v[32:33], v[28:29]
	v_fma_f64 v[32:33], v[36:37], v[30:31], v[32:33]
	v_fma_f64 v[34:35], -v[32:33], v[32:33], v[28:29]
	v_fma_f64 v[30:31], v[34:35], v[30:31], v[32:33]
	v_cndmask_b32_e64 v32, 0, 0xffffff80, vcc_lo
	v_cmp_class_f64_e64 vcc_lo, v[28:29], 0x260
	v_ldexp_f64 v[30:31], v[30:31], v32
	v_cndmask_b32_e32 v29, v31, v29, vcc_lo
	v_cndmask_b32_e32 v28, v30, v28, vcc_lo
	v_cmp_eq_f64_e32 vcc_lo, 0, v[17:18]
	v_mul_f64 v[28:29], v[17:18], v[28:29]
	v_max_f64 v[17:18], v[17:18], v[26:27]
	v_cmp_lt_f64_e64 s0, s[4:5], v[17:18]
	v_rcp_f64_e32 v[17:18], v[15:16]
	s_or_b32 vcc_lo, s0, vcc_lo
	v_cndmask_b32_e32 v14, v29, v14, vcc_lo
	v_fma_f64 v[24:25], -v[15:16], v[17:18], 1.0
	v_cndmask_b32_e32 v13, v28, v13, vcc_lo
	v_fma_f64 v[17:18], v[17:18], v[24:25], v[17:18]
	v_fma_f64 v[24:25], -v[15:16], v[17:18], 1.0
	v_fma_f64 v[17:18], v[17:18], v[24:25], v[17:18]
	v_div_scale_f64 v[24:25], vcc_lo, 1.0, v[11:12], 1.0
	v_mul_f64 v[26:27], v[24:25], v[17:18]
	v_fma_f64 v[15:16], -v[15:16], v[26:27], v[24:25]
	v_div_fmas_f64 v[15:16], v[15:16], v[17:18], v[26:27]
	v_div_fixup_f64 v[11:12], v[15:16], v[11:12], 1.0
	v_mul_f64 v[5:6], v[5:6], v[11:12]
	v_mul_f64 v[1:2], v[1:2], v[11:12]
	v_and_b32_e32 v7, 0x7fffffff, v6
	v_cmp_gt_f64_e64 vcc_lo, |v[5:6]|, |v[1:2]|
	v_and_b32_e32 v8, 0x7fffffff, v2
	v_cndmask_b32_e32 v4, v8, v7, vcc_lo
	v_cndmask_b32_e32 v3, v1, v5, vcc_lo
	;; [unrolled: 1-line block ×4, first 2 shown]
	v_add_f64 v[1:2], |v[5:6]|, |v[1:2]|
	v_div_scale_f64 v[11:12], null, v[3:4], v[3:4], v[7:8]
	v_rcp_f64_e32 v[15:16], v[11:12]
	v_fma_f64 v[17:18], -v[11:12], v[15:16], 1.0
	v_fma_f64 v[15:16], v[15:16], v[17:18], v[15:16]
	v_fma_f64 v[17:18], -v[11:12], v[15:16], 1.0
	v_fma_f64 v[15:16], v[15:16], v[17:18], v[15:16]
	v_div_scale_f64 v[17:18], vcc_lo, v[7:8], v[3:4], v[7:8]
	v_mul_f64 v[22:23], v[17:18], v[15:16]
	v_fma_f64 v[11:12], -v[11:12], v[22:23], v[17:18]
	v_div_fmas_f64 v[11:12], v[11:12], v[15:16], v[22:23]
	v_div_fixup_f64 v[11:12], v[11:12], v[3:4], v[7:8]
	v_fma_f64 v[11:12], v[11:12], v[11:12], 1.0
	v_cmp_gt_f64_e32 vcc_lo, 0x10000000, v[11:12]
	v_cndmask_b32_e64 v15, 0, 0x100, vcc_lo
	v_ldexp_f64 v[11:12], v[11:12], v15
	v_rsq_f64_e32 v[15:16], v[11:12]
	v_mul_f64 v[17:18], v[11:12], v[15:16]
	v_mul_f64 v[15:16], v[15:16], 0.5
	v_fma_f64 v[22:23], -v[15:16], v[17:18], 0.5
	v_fma_f64 v[17:18], v[17:18], v[22:23], v[17:18]
	v_fma_f64 v[15:16], v[15:16], v[22:23], v[15:16]
	v_fma_f64 v[24:25], -v[17:18], v[17:18], v[11:12]
	v_fma_f64 v[17:18], v[24:25], v[15:16], v[17:18]
	v_fma_f64 v[22:23], -v[17:18], v[17:18], v[11:12]
	v_fma_f64 v[15:16], v[22:23], v[15:16], v[17:18]
	v_cndmask_b32_e64 v17, 0, 0xffffff80, vcc_lo
	v_cmp_class_f64_e64 vcc_lo, v[11:12], 0x260
	v_ldexp_f64 v[15:16], v[15:16], v17
	v_cndmask_b32_e32 v12, v16, v12, vcc_lo
	v_cndmask_b32_e32 v11, v15, v11, vcc_lo
	v_cmp_eq_f64_e32 vcc_lo, 0, v[3:4]
	v_mul_f64 v[11:12], v[3:4], v[11:12]
	v_max_f64 v[3:4], v[3:4], v[7:8]
	v_cmp_lt_f64_e64 s0, s[4:5], v[3:4]
	s_or_b32 vcc_lo, s0, vcc_lo
	v_cndmask_b32_e32 v2, v12, v2, vcc_lo
	v_cndmask_b32_e32 v1, v11, v1, vcc_lo
	s_waitcnt lgkmcnt(0)
	v_add_co_u32 v0, vcc_lo, s2, v0
	v_add_f64 v[1:2], v[13:14], -v[1:2]
	v_cmp_lt_f64_e64 s0, |v[1:2]|, s[6:7]
	v_add_nc_u16 v2, v21, v10
	v_add_nc_u16 v2, v2, v20
	;; [unrolled: 1-line block ×3, first 2 shown]
	v_cndmask_b32_e64 v1, 0, 1, s0
	v_add_nc_u16 v2, v2, v1
	v_add_co_ci_u32_e64 v1, null, s3, v19, vcc_lo
	global_store_byte v[0:1], v2, off
.LBB1_8:
	s_endpgm
	.section	.rodata,"a",@progbits
	.p2align	6, 0x0
	.amdhsa_kernel _Z14complex_doublePci
		.amdhsa_group_segment_fixed_size 0
		.amdhsa_private_segment_fixed_size 0
		.amdhsa_kernarg_size 272
		.amdhsa_user_sgpr_count 6
		.amdhsa_user_sgpr_private_segment_buffer 1
		.amdhsa_user_sgpr_dispatch_ptr 0
		.amdhsa_user_sgpr_queue_ptr 0
		.amdhsa_user_sgpr_kernarg_segment_ptr 1
		.amdhsa_user_sgpr_dispatch_id 0
		.amdhsa_user_sgpr_flat_scratch_init 0
		.amdhsa_user_sgpr_private_segment_size 0
		.amdhsa_wavefront_size32 1
		.amdhsa_uses_dynamic_stack 0
		.amdhsa_system_sgpr_private_segment_wavefront_offset 0
		.amdhsa_system_sgpr_workgroup_id_x 1
		.amdhsa_system_sgpr_workgroup_id_y 0
		.amdhsa_system_sgpr_workgroup_id_z 0
		.amdhsa_system_sgpr_workgroup_info 0
		.amdhsa_system_vgpr_workitem_id 0
		.amdhsa_next_free_vgpr 38
		.amdhsa_next_free_sgpr 11
		.amdhsa_reserve_vcc 1
		.amdhsa_reserve_flat_scratch 0
		.amdhsa_float_round_mode_32 0
		.amdhsa_float_round_mode_16_64 0
		.amdhsa_float_denorm_mode_32 3
		.amdhsa_float_denorm_mode_16_64 3
		.amdhsa_dx10_clamp 1
		.amdhsa_ieee_mode 1
		.amdhsa_fp16_overflow 0
		.amdhsa_workgroup_processor_mode 1
		.amdhsa_memory_ordered 1
		.amdhsa_forward_progress 1
		.amdhsa_shared_vgpr_count 0
		.amdhsa_exception_fp_ieee_invalid_op 0
		.amdhsa_exception_fp_denorm_src 0
		.amdhsa_exception_fp_ieee_div_zero 0
		.amdhsa_exception_fp_ieee_overflow 0
		.amdhsa_exception_fp_ieee_underflow 0
		.amdhsa_exception_fp_ieee_inexact 0
		.amdhsa_exception_int_div_zero 0
	.end_amdhsa_kernel
	.text
.Lfunc_end1:
	.size	_Z14complex_doublePci, .Lfunc_end1-_Z14complex_doublePci
                                        ; -- End function
	.set _Z14complex_doublePci.num_vgpr, 38
	.set _Z14complex_doublePci.num_agpr, 0
	.set _Z14complex_doublePci.numbered_sgpr, 11
	.set _Z14complex_doublePci.num_named_barrier, 0
	.set _Z14complex_doublePci.private_seg_size, 0
	.set _Z14complex_doublePci.uses_vcc, 1
	.set _Z14complex_doublePci.uses_flat_scratch, 0
	.set _Z14complex_doublePci.has_dyn_sized_stack, 0
	.set _Z14complex_doublePci.has_recursion, 0
	.set _Z14complex_doublePci.has_indirect_call, 0
	.section	.AMDGPU.csdata,"",@progbits
; Kernel info:
; codeLenInByte = 3788
; TotalNumSgprs: 13
; NumVgprs: 38
; ScratchSize: 0
; MemoryBound: 0
; FloatMode: 240
; IeeeMode: 1
; LDSByteSize: 0 bytes/workgroup (compile time only)
; SGPRBlocks: 0
; VGPRBlocks: 4
; NumSGPRsForWavesPerEU: 13
; NumVGPRsForWavesPerEU: 38
; Occupancy: 16
; WaveLimiterHint : 0
; COMPUTE_PGM_RSRC2:SCRATCH_EN: 0
; COMPUTE_PGM_RSRC2:USER_SGPR: 6
; COMPUTE_PGM_RSRC2:TRAP_HANDLER: 0
; COMPUTE_PGM_RSRC2:TGID_X_EN: 1
; COMPUTE_PGM_RSRC2:TGID_Y_EN: 0
; COMPUTE_PGM_RSRC2:TGID_Z_EN: 0
; COMPUTE_PGM_RSRC2:TIDIG_COMP_CNT: 0
	.text
	.protected	_Z17ref_complex_floatPci ; -- Begin function _Z17ref_complex_floatPci
	.globl	_Z17ref_complex_floatPci
	.p2align	8
	.type	_Z17ref_complex_floatPci,@function
_Z17ref_complex_floatPci:               ; @_Z17ref_complex_floatPci
; %bb.0:
	s_clause 0x1
	s_load_dword s0, s[4:5], 0x1c
	s_load_dword s1, s[4:5], 0x8
	s_waitcnt lgkmcnt(0)
	s_and_b32 s0, s0, 0xffff
	v_mad_u64_u32 v[0:1], null, s6, s0, v[0:1]
	s_mov_b32 s0, exec_lo
	v_cmpx_gt_i32_e64 s1, v0
	s_cbranch_execz .LBB2_8
; %bb.1:
	v_ashrrev_i32_e32 v8, 31, v0
	v_mov_b32_e32 v1, 0xe48e2826
	v_mov_b32_e32 v2, 0x26f19d38
	s_mov_b32 s3, 0
	s_mov_b32 s6, 0x26f19d38
	s_mov_b32 s2, exec_lo
	v_cmpx_ne_u32_e32 0, v0
	s_cbranch_execz .LBB2_7
; %bb.2:
	v_and_b32_e32 v1, 0x7fffffff, v8
	v_mov_b32_e32 v2, 1
	v_mov_b32_e32 v4, 0
	v_mov_b32_e32 v3, 0
	v_mov_b32_e32 v5, 0
	v_mov_b32_e32 v7, v1
	v_mov_b32_e32 v6, v0
	s_mov_b32 s7, 0xe48e2825
	s_mov_b64 s[0:1], 1
	s_inst_prefetch 0x1
	s_branch .LBB2_4
	.p2align	6
.LBB2_3:                                ;   in Loop: Header=BB2_4 Depth=1
	s_or_b32 exec_lo, exec_lo, s8
	s_add_u32 s8, s7, 1
	v_lshrrev_b64 v[9:10], 1, v[6:7]
	s_addc_u32 s9, s6, 0
	s_mul_i32 s1, s8, s1
	s_mul_hi_u32 s10, s8, s0
	s_mul_i32 s9, s9, s0
	s_add_i32 s1, s10, s1
	v_cmp_gt_u64_e32 vcc_lo, 2, v[6:7]
	s_add_i32 s1, s1, s9
	s_mul_i32 s6, s7, s6
	s_mul_hi_u32 s9, s7, s7
	v_mov_b32_e32 v6, v9
	s_mul_i32 s0, s8, s0
	s_add_i32 s8, s9, s6
	v_mov_b32_e32 v7, v10
	s_add_i32 s6, s8, s6
	s_or_b32 s3, vcc_lo, s3
	s_mul_i32 s7, s7, s7
	s_andn2_b32 exec_lo, exec_lo, s3
	s_cbranch_execz .LBB2_6
.LBB2_4:                                ; =>This Inner Loop Header: Depth=1
	v_and_b32_e32 v1, 1, v6
	s_mov_b32 s8, exec_lo
	v_cmpx_eq_u32_e32 1, v1
	s_cbranch_execz .LBB2_3
; %bb.5:                                ;   in Loop: Header=BB2_4 Depth=1
	v_mad_u64_u32 v[9:10], null, s7, v4, s[0:1]
	v_mul_lo_u32 v1, s7, v5
	v_mul_lo_u32 v4, s6, v4
	v_mul_lo_u32 v5, s6, v2
	v_mul_lo_u32 v11, s7, v3
	v_mad_u64_u32 v[2:3], null, s7, v2, 0
	v_add3_u32 v10, v4, v10, v1
	v_add3_u32 v3, v3, v11, v5
	v_mov_b32_e32 v4, v9
	v_mov_b32_e32 v5, v10
	s_branch .LBB2_3
.LBB2_6:
	s_inst_prefetch 0x2
	s_or_b32 exec_lo, exec_lo, s3
	v_add_co_u32 v1, vcc_lo, v4, v2
	v_add_co_ci_u32_e64 v2, null, v5, v3, vcc_lo
	v_mul_lo_u32 v3, 0x26f19d38, v1
	v_mul_lo_u32 v4, 0xe48e2825, v2
	v_mad_u64_u32 v[1:2], null, 0xe48e2825, v1, 1
	v_add3_u32 v2, v4, v2, v3
	v_and_b32_e32 v2, 0x7fffffff, v2
.LBB2_7:
	s_or_b32 exec_lo, exec_lo, s2
	v_mad_u64_u32 v[3:4], null, 0xe48e2825, v1, 1
	v_mul_lo_u32 v5, 0x26f19d38, v1
	v_mul_lo_u32 v6, 0xe48e2825, v2
	s_mov_b32 s0, 0xe48e2826
	s_mov_b32 s1, 0x26f19d38
	v_cvt_f64_u32_e32 v[14:15], v1
	s_load_dwordx2 s[8:9], s[4:5], 0x0
	v_mul_lo_u32 v10, 0x26f19d38, v3
	v_add3_u32 v9, v6, v4, v5
	v_mad_u64_u32 v[4:5], null, 0xe48e2825, v3, 0
	v_cvt_f64_u32_e32 v[6:7], v2
	v_mul_lo_u32 v11, 0xe48e2825, v9
	v_and_b32_e32 v2, 0x7fffffff, v9
	v_mul_lo_u32 v13, 0x26f19d38, v4
	v_add_co_u32 v16, vcc_lo, v4, 1
	v_add3_u32 v5, v5, v10, v11
	v_cvt_f64_u32_e32 v[9:10], v2
	v_mad_u64_u32 v[11:12], null, 0xe48e2825, v4, s[0:1]
	v_cvt_f64_u32_e32 v[16:17], v16
	v_mul_lo_u32 v2, 0xe48e2825, v5
	v_add_co_ci_u32_e64 v4, null, 0, v5, vcc_lo
	v_cvt_f64_u32_e32 v[18:19], v11
	v_and_b32_e32 v4, 0x7fffffff, v4
	v_ldexp_f64 v[6:7], v[6:7], 32
	v_add3_u32 v2, v2, v12, v13
	v_cvt_f64_u32_e32 v[4:5], v4
	v_and_b32_e32 v12, 0x7fffffff, v2
	v_cvt_f64_u32_e32 v[2:3], v3
	v_ldexp_f64 v[9:10], v[9:10], 32
	v_cvt_f64_u32_e32 v[12:13], v12
	v_add_f64 v[6:7], v[6:7], v[14:15]
	v_ldexp_f64 v[4:5], v[4:5], 32
	v_add_f64 v[1:2], v[9:10], v[2:3]
	v_ldexp_f64 v[9:10], v[12:13], 32
	;; [unrolled: 2-line block ×3, first 2 shown]
	v_ldexp_f64 v[1:2], v[1:2], 0xffffffc1
	v_add_f64 v[9:10], v[9:10], v[18:19]
	v_ldexp_f64 v[3:4], v[3:4], 0xffffffc1
	v_cvt_f32_f64_e32 v5, v[5:6]
	v_cvt_f32_f64_e32 v7, v[1:2]
	v_ldexp_f64 v[1:2], v[9:10], 0xffffffc1
	v_cvt_f32_f64_e32 v3, v[3:4]
	v_mul_f32_e32 v4, v7, v7
	v_cvt_f32_f64_e32 v1, v[1:2]
	v_fmac_f32_e32 v4, v5, v5
	v_mul_f32_e32 v2, 0x4f800000, v4
	v_cmp_gt_f32_e32 vcc_lo, 0xf800000, v4
	v_sub_f32_e32 v6, v5, v3
	v_cndmask_b32_e32 v2, v4, v2, vcc_lo
	v_add_f32_e32 v4, v5, v3
	v_mul_f32_e32 v9, v5, v3
	v_mul_f32_e32 v6, v6, v6
	v_sqrt_f32_e32 v10, v2
	v_mul_f32_e32 v4, v4, v4
	v_mul_f32_e32 v5, v5, v1
	v_fma_f32 v11, -v7, v1, v9
	v_mul_f32_e32 v12, v1, v1
	v_add_f32_e32 v13, v7, v1
	v_sub_f32_e64 v14, -v1, v7
	v_sub_f32_e32 v15, v7, v1
	v_sub_f32_e32 v16, v1, v7
	v_fmac_f32_e32 v9, v7, v1
	v_add_nc_u32_e32 v1, -1, v10
	v_fma_f32 v18, v7, v3, v5
	v_fmac_f32_e32 v12, v3, v3
	v_fma_f32 v19, v13, v13, v4
	v_fma_f32 v4, v13, v14, -v4
	v_fma_f32 v13, v15, v15, v6
	v_fma_f32 v6, v15, v16, -v6
	v_add_f32_e32 v14, v9, v9
	v_fma_f32 v15, -v7, v3, -v5
	v_fma_f32 v3, -v7, v3, v5
	v_fma_f32 v5, -v1, v10, v2
	v_add_nc_u32_e32 v17, 1, v10
	v_fmac_f32_e32 v14, -2.0, v9
	v_mul_f32_e32 v16, v18, v18
	v_mul_f32_e32 v18, 0x4f800000, v12
	v_cmp_ge_f32_e64 s4, 0, v5
	v_fma_f32 v7, -v17, v10, v2
	v_div_scale_f32 v22, null, v12, v12, v11
	v_cmp_gt_f32_e64 s7, 0x3a83126f, |v14|
	v_cndmask_b32_e64 v1, v10, v1, s4
	v_cmp_gt_f32_e64 s4, 0xf800000, v12
	v_mul_f32_e32 v20, 0x4f800000, v19
	v_div_scale_f32 v24, null, v12, v12, v15
	v_cmp_gt_f32_e64 s5, 0xf800000, v19
	v_div_scale_f32 v26, null, v12, v12, v9
	v_fmac_f32_e32 v16, v11, v11
	v_cndmask_b32_e64 v5, v12, v18, s4
	v_cndmask_b32_e64 v14, 0, 1, s7
	v_rcp_f32_e32 v18, v22
	v_cmp_lt_f32_e64 s7, 0, v7
	v_mul_f32_e32 v21, 0x4f800000, v13
	v_div_scale_f32 v28, null, v12, v12, v3
	v_cmp_gt_f32_e64 s6, 0xf800000, v13
	v_cndmask_b32_e64 v10, v19, v20, s5
	v_rcp_f32_e32 v19, v24
	v_rcp_f32_e32 v20, v26
	v_cndmask_b32_e64 v1, v1, v17, s7
	v_mul_f32_e32 v7, 0x4f800000, v16
	v_cmp_gt_f32_e64 s7, 0xf800000, v16
	v_cndmask_b32_e64 v13, v13, v21, s6
	v_rcp_f32_e32 v21, v28
	v_sqrt_f32_e32 v17, v5
	v_sqrt_f32_e32 v30, v10
	v_cndmask_b32_e64 v7, v16, v7, s7
	v_fma_f32 v16, -v22, v18, 1.0
	v_fma_f32 v33, -v24, v19, 1.0
	v_mul_f32_e32 v32, 0x37800000, v1
	v_fma_f32 v34, -v26, v20, 1.0
	v_div_scale_f32 v23, s0, v11, v12, v11
	v_fmac_f32_e32 v18, v16, v18
	v_fma_f32 v35, -v28, v21, 1.0
	v_div_scale_f32 v25, s1, v15, v12, v15
	v_fmac_f32_e32 v19, v33, v19
	v_cndmask_b32_e32 v1, v1, v32, vcc_lo
	v_add_nc_u32_e32 v36, -1, v17
	v_cmp_class_f32_e64 vcc_lo, v2, 0x260
	v_div_scale_f32 v27, s2, v9, v12, v9
	v_fmac_f32_e32 v20, v34, v20
	v_mul_f32_e32 v43, v23, v18
	v_div_scale_f32 v29, s3, v3, v12, v3
	v_fmac_f32_e32 v21, v35, v21
	v_mul_f32_e32 v44, v25, v19
	v_add_nc_u32_e32 v38, -1, v30
	v_cndmask_b32_e32 v1, v1, v2, vcc_lo
	v_fma_f32 v2, -v36, v17, v5
	v_mul_f32_e32 v45, v27, v20
	v_fma_f32 v49, -v22, v43, v23
	v_sqrt_f32_e32 v31, v13
	v_mul_f32_e32 v46, v29, v21
	v_fma_f32 v50, -v24, v44, v25
	v_fma_f32 v33, -v38, v30, v10
	v_cmp_ge_f32_e32 vcc_lo, 0, v2
	v_fma_f32 v51, -v26, v45, v27
	v_fmac_f32_e32 v43, v49, v18
	v_fma_f32 v52, -v28, v46, v29
	v_fmac_f32_e32 v44, v50, v19
	v_add_nc_u32_e32 v37, 1, v17
	v_cndmask_b32_e32 v2, v17, v36, vcc_lo
	v_cmp_ge_f32_e32 vcc_lo, 0, v33
	v_fmac_f32_e32 v45, v51, v20
	v_fma_f32 v22, -v22, v43, v23
	v_add_nc_u32_e32 v40, -1, v31
	v_fmac_f32_e32 v46, v52, v21
	v_fma_f32 v23, -v24, v44, v25
	v_fma_f32 v16, -v37, v17, v5
	v_cndmask_b32_e32 v17, v30, v38, vcc_lo
	s_mov_b32 vcc_lo, s0
	v_fma_f32 v24, -v26, v45, v27
	v_div_fmas_f32 v18, v22, v18, v43
	s_mov_b32 vcc_lo, s1
	v_fma_f32 v35, -v40, v31, v13
	v_fma_f32 v25, -v28, v46, v29
	v_div_fmas_f32 v19, v23, v19, v44
	s_mov_b32 vcc_lo, s2
	v_sqrt_f32_e32 v32, v7
	v_div_fmas_f32 v20, v24, v20, v45
	s_mov_b32 vcc_lo, s3
	v_add_nc_u32_e32 v39, 1, v30
	v_div_fmas_f32 v21, v25, v21, v46
	v_cmp_ge_f32_e32 vcc_lo, 0, v35
	v_add_nc_u32_e32 v41, 1, v31
	v_div_fixup_f32 v15, v19, v12, v15
	v_fma_f32 v34, -v39, v30, v10
	v_div_fixup_f32 v3, v21, v12, v3
	v_cndmask_b32_e32 v22, v31, v40, vcc_lo
	v_cmp_lt_f32_e32 vcc_lo, 0, v16
	v_fma_f32 v42, -v41, v31, v13
	v_add_nc_u32_e32 v47, -1, v32
	v_div_fixup_f32 v11, v18, v12, v11
	v_div_fixup_f32 v9, v20, v12, v9
	v_cndmask_b32_e32 v2, v2, v37, vcc_lo
	v_cmp_lt_f32_e32 vcc_lo, 0, v34
	v_fma_f32 v23, -v47, v32, v7
	v_mul_f32_e32 v12, v15, v15
	v_add_nc_u32_e32 v48, 1, v32
	v_mul_f32_e32 v3, v3, v3
	v_cndmask_b32_e32 v15, v17, v39, vcc_lo
	v_cmp_lt_f32_e32 vcc_lo, 0, v42
	v_fmac_f32_e32 v12, v11, v11
	v_fma_f32 v24, -v48, v32, v7
	v_fmac_f32_e32 v3, v9, v9
	v_mul_f32_e32 v11, 0x37800000, v2
	v_cndmask_b32_e32 v16, v22, v41, vcc_lo
	v_cmp_ge_f32_e32 vcc_lo, 0, v23
	v_mul_f32_e32 v17, 0x4f800000, v12
	v_mul_f32_e32 v19, 0x4f800000, v3
	v_cmp_gt_f32_e64 s0, 0xf800000, v3
	v_cmp_lt_f32_e64 s1, 0, v24
	v_cndmask_b32_e32 v9, v32, v47, vcc_lo
	v_cmp_gt_f32_e32 vcc_lo, 0xf800000, v12
	v_mul_f32_e32 v18, 0x37800000, v15
	v_cndmask_b32_e64 v3, v3, v19, s0
	v_cndmask_b32_e64 v2, v2, v11, s4
	;; [unrolled: 1-line block ×3, first 2 shown]
	v_cndmask_b32_e32 v12, v12, v17, vcc_lo
	v_cmp_class_f32_e64 s1, v5, 0x260
	v_mul_f32_e32 v20, 0x37800000, v16
	v_cndmask_b32_e64 v11, v15, v18, s5
	v_sqrt_f32_e32 v15, v3
	v_sqrt_f32_e32 v17, v12
	v_cndmask_b32_e64 v2, v2, v5, s1
	v_cmp_class_f32_e64 s1, v10, 0x260
	v_cndmask_b32_e64 v16, v16, v20, s6
	v_mul_f32_e32 v18, 0x37800000, v9
	v_cndmask_b32_e64 v5, v11, v10, s1
	v_cmp_class_f32_e64 s1, v13, 0x260
	v_cndmask_b32_e64 v9, v9, v18, s7
	v_add_nc_u32_e32 v10, -1, v17
	v_add_nc_u32_e32 v19, 1, v15
	v_fmac_f32_e32 v4, v5, v5
	v_cndmask_b32_e64 v11, v16, v13, s1
	v_add_nc_u32_e32 v13, -1, v15
	v_fma_f32 v20, -v10, v17, v12
	v_add_nc_u32_e32 v16, 1, v17
	v_fma_f32 v22, -v19, v15, v3
	v_fmac_f32_e32 v6, v11, v11
	v_fma_f32 v18, -v13, v15, v3
	v_cmp_ge_f32_e64 s1, 0, v20
	v_fma_f32 v21, -v16, v17, v12
	v_cndmask_b32_e64 v10, v17, v10, s1
	v_cmp_ge_f32_e64 s1, 0, v18
	v_cndmask_b32_e64 v13, v15, v13, s1
	v_cmp_lt_f32_e64 s1, 0, v21
	v_cndmask_b32_e64 v5, v10, v16, s1
	v_cmp_lt_f32_e64 s1, 0, v22
	v_cndmask_b32_e64 v10, v13, v19, s1
	v_cmp_class_f32_e64 s1, v7, 0x260
	v_mul_f32_e32 v13, 0x37800000, v10
	v_cndmask_b32_e64 v7, v9, v7, s1
	v_cmp_gt_f32_e64 s1, 0x3a83126f, |v4|
	v_mul_f32_e32 v9, 0x37800000, v5
	v_fma_f32 v1, -v1, v2, v7
	v_cndmask_b32_e64 v4, 0, 1, s1
	v_add_nc_u16 v2, v4, v14
	v_cndmask_b32_e32 v4, v5, v9, vcc_lo
	v_cmp_class_f32_e64 vcc_lo, v12, 0x260
	v_cndmask_b32_e64 v5, v10, v13, s0
	v_cmp_gt_f32_e64 s0, 0x3a83126f, |v1|
	v_cndmask_b32_e32 v4, v4, v12, vcc_lo
	v_cmp_class_f32_e64 vcc_lo, v3, 0x260
	v_cndmask_b32_e64 v1, 0, 1, s0
	v_cmp_gt_f32_e64 s0, 0x3a83126f, |v6|
	v_cndmask_b32_e32 v3, v5, v3, vcc_lo
	v_add_nc_u16 v1, v2, v1
	v_cndmask_b32_e64 v5, 0, 1, s0
	s_waitcnt lgkmcnt(0)
	v_add_co_u32 v0, vcc_lo, s8, v0
	v_sub_f32_e32 v2, v4, v3
	v_add_nc_u16 v1, v1, v5
	v_cmp_gt_f32_e64 s0, 0x3a83126f, |v2|
	v_cndmask_b32_e64 v2, 0, 1, s0
	v_add_nc_u16 v2, v1, v2
	v_add_co_ci_u32_e64 v1, null, s9, v8, vcc_lo
	global_store_byte v[0:1], v2, off
.LBB2_8:
	s_endpgm
	.section	.rodata,"a",@progbits
	.p2align	6, 0x0
	.amdhsa_kernel _Z17ref_complex_floatPci
		.amdhsa_group_segment_fixed_size 0
		.amdhsa_private_segment_fixed_size 0
		.amdhsa_kernarg_size 272
		.amdhsa_user_sgpr_count 6
		.amdhsa_user_sgpr_private_segment_buffer 1
		.amdhsa_user_sgpr_dispatch_ptr 0
		.amdhsa_user_sgpr_queue_ptr 0
		.amdhsa_user_sgpr_kernarg_segment_ptr 1
		.amdhsa_user_sgpr_dispatch_id 0
		.amdhsa_user_sgpr_flat_scratch_init 0
		.amdhsa_user_sgpr_private_segment_size 0
		.amdhsa_wavefront_size32 1
		.amdhsa_uses_dynamic_stack 0
		.amdhsa_system_sgpr_private_segment_wavefront_offset 0
		.amdhsa_system_sgpr_workgroup_id_x 1
		.amdhsa_system_sgpr_workgroup_id_y 0
		.amdhsa_system_sgpr_workgroup_id_z 0
		.amdhsa_system_sgpr_workgroup_info 0
		.amdhsa_system_vgpr_workitem_id 0
		.amdhsa_next_free_vgpr 53
		.amdhsa_next_free_sgpr 11
		.amdhsa_reserve_vcc 1
		.amdhsa_reserve_flat_scratch 0
		.amdhsa_float_round_mode_32 0
		.amdhsa_float_round_mode_16_64 0
		.amdhsa_float_denorm_mode_32 3
		.amdhsa_float_denorm_mode_16_64 3
		.amdhsa_dx10_clamp 1
		.amdhsa_ieee_mode 1
		.amdhsa_fp16_overflow 0
		.amdhsa_workgroup_processor_mode 1
		.amdhsa_memory_ordered 1
		.amdhsa_forward_progress 1
		.amdhsa_shared_vgpr_count 0
		.amdhsa_exception_fp_ieee_invalid_op 0
		.amdhsa_exception_fp_denorm_src 0
		.amdhsa_exception_fp_ieee_div_zero 0
		.amdhsa_exception_fp_ieee_overflow 0
		.amdhsa_exception_fp_ieee_underflow 0
		.amdhsa_exception_fp_ieee_inexact 0
		.amdhsa_exception_int_div_zero 0
	.end_amdhsa_kernel
	.text
.Lfunc_end2:
	.size	_Z17ref_complex_floatPci, .Lfunc_end2-_Z17ref_complex_floatPci
                                        ; -- End function
	.set _Z17ref_complex_floatPci.num_vgpr, 53
	.set _Z17ref_complex_floatPci.num_agpr, 0
	.set _Z17ref_complex_floatPci.numbered_sgpr, 11
	.set _Z17ref_complex_floatPci.num_named_barrier, 0
	.set _Z17ref_complex_floatPci.private_seg_size, 0
	.set _Z17ref_complex_floatPci.uses_vcc, 1
	.set _Z17ref_complex_floatPci.uses_flat_scratch, 0
	.set _Z17ref_complex_floatPci.has_dyn_sized_stack, 0
	.set _Z17ref_complex_floatPci.has_recursion, 0
	.set _Z17ref_complex_floatPci.has_indirect_call, 0
	.section	.AMDGPU.csdata,"",@progbits
; Kernel info:
; codeLenInByte = 2232
; TotalNumSgprs: 13
; NumVgprs: 53
; ScratchSize: 0
; MemoryBound: 0
; FloatMode: 240
; IeeeMode: 1
; LDSByteSize: 0 bytes/workgroup (compile time only)
; SGPRBlocks: 0
; VGPRBlocks: 6
; NumSGPRsForWavesPerEU: 13
; NumVGPRsForWavesPerEU: 53
; Occupancy: 16
; WaveLimiterHint : 0
; COMPUTE_PGM_RSRC2:SCRATCH_EN: 0
; COMPUTE_PGM_RSRC2:USER_SGPR: 6
; COMPUTE_PGM_RSRC2:TRAP_HANDLER: 0
; COMPUTE_PGM_RSRC2:TGID_X_EN: 1
; COMPUTE_PGM_RSRC2:TGID_Y_EN: 0
; COMPUTE_PGM_RSRC2:TGID_Z_EN: 0
; COMPUTE_PGM_RSRC2:TIDIG_COMP_CNT: 0
	.text
	.protected	_Z18ref_complex_doublePci ; -- Begin function _Z18ref_complex_doublePci
	.globl	_Z18ref_complex_doublePci
	.p2align	8
	.type	_Z18ref_complex_doublePci,@function
_Z18ref_complex_doublePci:              ; @_Z18ref_complex_doublePci
; %bb.0:
	s_clause 0x1
	s_load_dword s0, s[4:5], 0x1c
	s_load_dword s1, s[4:5], 0x8
	s_waitcnt lgkmcnt(0)
	s_and_b32 s0, s0, 0xffff
	v_mad_u64_u32 v[0:1], null, s6, s0, v[0:1]
	s_mov_b32 s0, exec_lo
	v_cmpx_gt_i32_e64 s1, v0
	s_cbranch_execz .LBB3_8
; %bb.1:
	v_ashrrev_i32_e32 v11, 31, v0
	v_mov_b32_e32 v1, 0xe48e2826
	v_mov_b32_e32 v2, 0x26f19d38
	s_mov_b32 s3, 0
	s_mov_b32 s6, 0x26f19d38
	s_mov_b32 s2, exec_lo
	v_cmpx_ne_u32_e32 0, v0
	s_cbranch_execz .LBB3_7
; %bb.2:
	v_and_b32_e32 v1, 0x7fffffff, v11
	v_mov_b32_e32 v2, 1
	v_mov_b32_e32 v4, 0
	;; [unrolled: 1-line block ×6, first 2 shown]
	s_mov_b32 s7, 0xe48e2825
	s_mov_b64 s[0:1], 1
	s_inst_prefetch 0x1
	s_branch .LBB3_4
	.p2align	6
.LBB3_3:                                ;   in Loop: Header=BB3_4 Depth=1
	s_or_b32 exec_lo, exec_lo, s8
	s_add_u32 s8, s7, 1
	v_lshrrev_b64 v[8:9], 1, v[6:7]
	s_addc_u32 s9, s6, 0
	s_mul_i32 s1, s8, s1
	s_mul_hi_u32 s10, s8, s0
	s_mul_i32 s9, s9, s0
	s_add_i32 s1, s10, s1
	v_cmp_gt_u64_e32 vcc_lo, 2, v[6:7]
	s_add_i32 s1, s1, s9
	s_mul_i32 s6, s7, s6
	s_mul_hi_u32 s9, s7, s7
	v_mov_b32_e32 v6, v8
	s_mul_i32 s0, s8, s0
	s_add_i32 s8, s9, s6
	v_mov_b32_e32 v7, v9
	s_add_i32 s6, s8, s6
	s_or_b32 s3, vcc_lo, s3
	s_mul_i32 s7, s7, s7
	s_andn2_b32 exec_lo, exec_lo, s3
	s_cbranch_execz .LBB3_6
.LBB3_4:                                ; =>This Inner Loop Header: Depth=1
	v_and_b32_e32 v1, 1, v6
	s_mov_b32 s8, exec_lo
	v_cmpx_eq_u32_e32 1, v1
	s_cbranch_execz .LBB3_3
; %bb.5:                                ;   in Loop: Header=BB3_4 Depth=1
	v_mad_u64_u32 v[8:9], null, s7, v4, s[0:1]
	v_mul_lo_u32 v1, s7, v5
	v_mul_lo_u32 v4, s6, v4
	;; [unrolled: 1-line block ×4, first 2 shown]
	v_mad_u64_u32 v[2:3], null, s7, v2, 0
	v_add3_u32 v9, v4, v9, v1
	v_add3_u32 v3, v3, v10, v5
	v_mov_b32_e32 v4, v8
	v_mov_b32_e32 v5, v9
	s_branch .LBB3_3
.LBB3_6:
	s_inst_prefetch 0x2
	s_or_b32 exec_lo, exec_lo, s3
	v_add_co_u32 v1, vcc_lo, v4, v2
	v_add_co_ci_u32_e64 v2, null, v5, v3, vcc_lo
	v_mul_lo_u32 v3, 0x26f19d38, v1
	v_mul_lo_u32 v4, 0xe48e2825, v2
	v_mad_u64_u32 v[1:2], null, 0xe48e2825, v1, 1
	v_add3_u32 v2, v4, v2, v3
	v_and_b32_e32 v2, 0x7fffffff, v2
.LBB3_7:
	s_or_b32 exec_lo, exec_lo, s2
	v_cvt_f64_u32_e32 v[3:4], v2
	v_cvt_f64_u32_e32 v[5:6], v1
	v_mul_lo_u32 v2, 0xe48e2825, v2
	s_mov_b32 s2, 0xe48e2826
	s_mov_b32 s3, 0x26f19d38
	s_load_dwordx2 s[0:1], s[4:5], 0x0
	v_ldexp_f64 v[3:4], v[3:4], 32
	v_add_f64 v[14:15], v[3:4], v[5:6]
	v_mad_u64_u32 v[3:4], null, 0xe48e2825, v1, 1
	v_mul_lo_u32 v1, 0x26f19d38, v1
	v_cvt_f64_u32_e32 v[7:8], v3
	v_mul_lo_u32 v9, 0x26f19d38, v3
	v_add3_u32 v4, v2, v4, v1
	v_and_b32_e32 v1, 0x7fffffff, v4
	v_mul_lo_u32 v4, 0xe48e2825, v4
	v_cvt_f64_u32_e32 v[1:2], v1
	v_ldexp_f64 v[5:6], v[14:15], 0xffffffc1
	v_ldexp_f64 v[1:2], v[1:2], 32
	v_add_f64 v[16:17], v[1:2], v[7:8]
	v_mad_u64_u32 v[7:8], null, 0xe48e2825, v3, 0
	v_add3_u32 v10, v8, v9, v4
	v_add_co_u32 v8, vcc_lo, v7, 1
	v_add_co_ci_u32_e64 v3, null, 0, v10, vcc_lo
	v_cvt_f64_u32_e32 v[8:9], v8
	v_and_b32_e32 v3, 0x7fffffff, v3
	v_ldexp_f64 v[1:2], v[16:17], 0xffffffc1
	v_cvt_f64_u32_e32 v[3:4], v3
	v_ldexp_f64 v[3:4], v[3:4], 32
	v_add_f64 v[3:4], v[3:4], v[8:9]
	v_mul_lo_u32 v9, 0xe48e2825, v10
	v_mul_lo_u32 v10, 0x26f19d38, v7
	v_mad_u64_u32 v[7:8], null, 0xe48e2825, v7, s[2:3]
	s_mov_b32 s2, 0xd2f1a9fc
	s_mov_b32 s3, 0x3f50624d
	v_add3_u32 v8, v9, v8, v10
	v_cvt_f64_u32_e32 v[12:13], v7
	v_and_b32_e32 v8, 0x7fffffff, v8
	v_cvt_f64_u32_e32 v[8:9], v8
	v_ldexp_f64 v[3:4], v[3:4], 0xffffffc1
	v_ldexp_f64 v[8:9], v[8:9], 32
	v_mul_f64 v[22:23], v[5:6], v[3:4]
	v_add_f64 v[18:19], v[8:9], v[12:13]
	v_ldexp_f64 v[20:21], v[18:19], 0xffffffc1
	v_fma_f64 v[18:19], 0x3c000000, v[18:19], -v[1:2]
	v_mul_f64 v[7:8], v[5:6], v[20:21]
	v_fma_f64 v[9:10], -v[1:2], v[20:21], v[22:23]
	v_fma_f64 v[12:13], v[1:2], v[3:4], v[7:8]
	v_mul_f64 v[12:13], v[12:13], v[12:13]
	v_fma_f64 v[12:13], v[9:10], v[9:10], v[12:13]
	v_cmp_gt_f64_e32 vcc_lo, 0x10000000, v[12:13]
	v_cndmask_b32_e64 v24, 0, 0x100, vcc_lo
	v_ldexp_f64 v[12:13], v[12:13], v24
	v_rsq_f64_e32 v[24:25], v[12:13]
	v_mul_f64 v[26:27], v[12:13], v[24:25]
	v_mul_f64 v[24:25], v[24:25], 0.5
	v_fma_f64 v[28:29], -v[24:25], v[26:27], 0.5
	v_fma_f64 v[26:27], v[26:27], v[28:29], v[26:27]
	v_fma_f64 v[24:25], v[24:25], v[28:29], v[24:25]
	v_fma_f64 v[30:31], -v[26:27], v[26:27], v[12:13]
	v_fma_f64 v[26:27], v[30:31], v[24:25], v[26:27]
	v_fma_f64 v[28:29], -v[26:27], v[26:27], v[12:13]
	v_fma_f64 v[24:25], v[28:29], v[24:25], v[26:27]
	v_cndmask_b32_e64 v26, 0, 0xffffff80, vcc_lo
	v_cmp_class_f64_e64 vcc_lo, v[12:13], 0x260
	v_ldexp_f64 v[24:25], v[24:25], v26
	v_cndmask_b32_e32 v13, v25, v13, vcc_lo
	v_cndmask_b32_e32 v12, v24, v12, vcc_lo
	v_mul_f64 v[24:25], v[1:2], v[1:2]
	v_fma_f64 v[5:6], v[5:6], v[5:6], v[24:25]
	v_cmp_gt_f64_e32 vcc_lo, 0x10000000, v[5:6]
	v_cndmask_b32_e64 v24, 0, 0x100, vcc_lo
	v_ldexp_f64 v[5:6], v[5:6], v24
	v_rsq_f64_e32 v[24:25], v[5:6]
	v_mul_f64 v[26:27], v[5:6], v[24:25]
	v_mul_f64 v[24:25], v[24:25], 0.5
	v_fma_f64 v[28:29], -v[24:25], v[26:27], 0.5
	v_fma_f64 v[26:27], v[26:27], v[28:29], v[26:27]
	v_fma_f64 v[24:25], v[24:25], v[28:29], v[24:25]
	v_fma_f64 v[30:31], -v[26:27], v[26:27], v[5:6]
	v_fma_f64 v[26:27], v[30:31], v[24:25], v[26:27]
	v_fma_f64 v[28:29], -v[26:27], v[26:27], v[5:6]
	v_fma_f64 v[24:25], v[28:29], v[24:25], v[26:27]
	v_cndmask_b32_e64 v26, 0, 0xffffff80, vcc_lo
	v_cmp_class_f64_e64 vcc_lo, v[5:6], 0x260
	v_ldexp_f64 v[24:25], v[24:25], v26
	v_cndmask_b32_e32 v25, v25, v6, vcc_lo
	v_cndmask_b32_e32 v24, v24, v5, vcc_lo
	;; [unrolled: 20-line block ×3, first 2 shown]
	v_fma_f64 v[12:13], -v[24:25], v[26:27], v[12:13]
	v_fma_f64 v[24:25], 0x3c000000, v[16:17], v[20:21]
	v_cmp_lt_f64_e64 s4, |v[12:13]|, s[2:3]
	v_fma_f64 v[12:13], 0x3c000000, v[14:15], v[3:4]
	v_fma_f64 v[14:15], 0x3c000000, v[14:15], -v[3:4]
	v_mul_f64 v[12:13], v[12:13], v[12:13]
	v_mul_f64 v[14:15], v[14:15], v[14:15]
	v_fma_f64 v[26:27], v[24:25], v[24:25], v[12:13]
	v_cmp_gt_f64_e32 vcc_lo, 0x10000000, v[26:27]
	v_cndmask_b32_e64 v28, 0, 0x100, vcc_lo
	v_ldexp_f64 v[26:27], v[26:27], v28
	v_rsq_f64_e32 v[28:29], v[26:27]
	v_mul_f64 v[30:31], v[26:27], v[28:29]
	v_mul_f64 v[28:29], v[28:29], 0.5
	v_fma_f64 v[32:33], -v[28:29], v[30:31], 0.5
	v_fma_f64 v[30:31], v[30:31], v[32:33], v[30:31]
	v_fma_f64 v[28:29], v[28:29], v[32:33], v[28:29]
	v_fma_f64 v[34:35], -v[30:31], v[30:31], v[26:27]
	v_fma_f64 v[30:31], v[34:35], v[28:29], v[30:31]
	v_fma_f64 v[32:33], -v[30:31], v[30:31], v[26:27]
	v_fma_f64 v[28:29], v[32:33], v[28:29], v[30:31]
	v_cndmask_b32_e64 v30, 0, 0xffffff80, vcc_lo
	v_cmp_class_f64_e64 vcc_lo, v[26:27], 0x260
	v_ldexp_f64 v[28:29], v[28:29], v30
	v_cndmask_b32_e32 v27, v29, v27, vcc_lo
	v_cndmask_b32_e32 v26, v28, v26, vcc_lo
	v_fma_f64 v[28:29], 0xbc000000, v[16:17], -v[20:21]
	v_fma_f64 v[16:17], 0x3c000000, v[16:17], -v[20:21]
	;; [unrolled: 1-line block ×3, first 2 shown]
	v_fma_f64 v[24:25], v[16:17], v[16:17], v[14:15]
	v_fma_f64 v[14:15], v[16:17], v[18:19], -v[14:15]
	v_fma_f64 v[16:17], v[1:2], v[20:21], v[22:23]
	v_fma_f64 v[12:13], v[26:27], v[26:27], v[12:13]
	v_cmp_gt_f64_e32 vcc_lo, 0x10000000, v[24:25]
	v_add_f64 v[18:19], v[16:17], v[16:17]
	v_cmp_lt_f64_e64 s5, |v[12:13]|, s[2:3]
	v_cndmask_b32_e64 v26, 0, 0x100, vcc_lo
	v_cndmask_b32_e64 v12, 0, 1, s4
	v_fma_f64 v[18:19], v[16:17], -2.0, v[18:19]
	v_ldexp_f64 v[24:25], v[24:25], v26
	v_cndmask_b32_e64 v13, 0, 1, s5
	v_rsq_f64_e32 v[26:27], v[24:25]
	v_mul_f64 v[28:29], v[24:25], v[26:27]
	v_mul_f64 v[26:27], v[26:27], 0.5
	v_fma_f64 v[30:31], -v[26:27], v[28:29], 0.5
	v_fma_f64 v[28:29], v[28:29], v[30:31], v[28:29]
	v_fma_f64 v[26:27], v[26:27], v[30:31], v[26:27]
	v_fma_f64 v[32:33], -v[28:29], v[28:29], v[24:25]
	v_fma_f64 v[28:29], v[32:33], v[26:27], v[28:29]
	v_fma_f64 v[30:31], -v[28:29], v[28:29], v[24:25]
	v_fma_f64 v[26:27], v[30:31], v[26:27], v[28:29]
	v_cndmask_b32_e64 v28, 0, 0xffffff80, vcc_lo
	v_cmp_class_f64_e64 vcc_lo, v[24:25], 0x260
	v_ldexp_f64 v[26:27], v[26:27], v28
	v_cndmask_b32_e32 v25, v27, v25, vcc_lo
	v_cndmask_b32_e32 v24, v26, v24, vcc_lo
	v_fma_f64 v[14:15], v[24:25], v[24:25], v[14:15]
	v_cmp_lt_f64_e64 s4, |v[14:15]|, s[2:3]
	v_cndmask_b32_e64 v14, 0, 1, s4
	v_cmp_lt_f64_e64 s4, |v[18:19]|, s[2:3]
	v_div_scale_f64 v[18:19], null, v[5:6], v[5:6], v[9:10]
	v_cndmask_b32_e64 v15, 0, 1, s4
	v_rcp_f64_e32 v[20:21], v[18:19]
	v_fma_f64 v[22:23], -v[18:19], v[20:21], 1.0
	v_fma_f64 v[20:21], v[20:21], v[22:23], v[20:21]
	v_fma_f64 v[22:23], -v[18:19], v[20:21], 1.0
	v_fma_f64 v[20:21], v[20:21], v[22:23], v[20:21]
	v_div_scale_f64 v[22:23], vcc_lo, v[9:10], v[5:6], v[9:10]
	v_mul_f64 v[24:25], v[22:23], v[20:21]
	v_fma_f64 v[18:19], -v[18:19], v[24:25], v[22:23]
	v_div_fmas_f64 v[18:19], v[18:19], v[20:21], v[24:25]
	v_div_fixup_f64 v[9:10], v[18:19], v[5:6], v[9:10]
	v_fma_f64 v[18:19], v[3:4], -v[1:2], -v[7:8]
	v_fma_f64 v[1:2], -v[1:2], v[3:4], v[7:8]
	v_div_scale_f64 v[20:21], null, v[5:6], v[5:6], v[18:19]
	v_div_scale_f64 v[3:4], null, v[5:6], v[5:6], v[1:2]
	v_rcp_f64_e32 v[22:23], v[20:21]
	v_rcp_f64_e32 v[7:8], v[3:4]
	v_fma_f64 v[24:25], -v[20:21], v[22:23], 1.0
	v_fma_f64 v[22:23], v[22:23], v[24:25], v[22:23]
	v_fma_f64 v[24:25], -v[20:21], v[22:23], 1.0
	v_fma_f64 v[22:23], v[22:23], v[24:25], v[22:23]
	v_div_scale_f64 v[24:25], vcc_lo, v[18:19], v[5:6], v[18:19]
	v_mul_f64 v[26:27], v[24:25], v[22:23]
	v_fma_f64 v[20:21], -v[20:21], v[26:27], v[24:25]
	v_div_fmas_f64 v[20:21], v[20:21], v[22:23], v[26:27]
	v_div_fixup_f64 v[18:19], v[20:21], v[5:6], v[18:19]
	v_mul_f64 v[18:19], v[18:19], v[18:19]
	v_fma_f64 v[9:10], v[9:10], v[9:10], v[18:19]
	v_cmp_gt_f64_e32 vcc_lo, 0x10000000, v[9:10]
	v_cndmask_b32_e64 v18, 0, 0x100, vcc_lo
	v_ldexp_f64 v[9:10], v[9:10], v18
	v_rsq_f64_e32 v[18:19], v[9:10]
	v_mul_f64 v[20:21], v[9:10], v[18:19]
	v_mul_f64 v[18:19], v[18:19], 0.5
	v_fma_f64 v[22:23], -v[18:19], v[20:21], 0.5
	v_fma_f64 v[20:21], v[20:21], v[22:23], v[20:21]
	v_fma_f64 v[18:19], v[18:19], v[22:23], v[18:19]
	v_fma_f64 v[24:25], -v[20:21], v[20:21], v[9:10]
	v_fma_f64 v[20:21], v[24:25], v[18:19], v[20:21]
	v_fma_f64 v[22:23], -v[20:21], v[20:21], v[9:10]
	v_fma_f64 v[18:19], v[22:23], v[18:19], v[20:21]
	v_cndmask_b32_e64 v20, 0, 0xffffff80, vcc_lo
	v_cmp_class_f64_e64 vcc_lo, v[9:10], 0x260
	v_ldexp_f64 v[18:19], v[18:19], v20
	v_cndmask_b32_e32 v10, v19, v10, vcc_lo
	v_cndmask_b32_e32 v9, v18, v9, vcc_lo
	v_div_scale_f64 v[18:19], null, v[5:6], v[5:6], v[16:17]
	v_rcp_f64_e32 v[20:21], v[18:19]
	v_fma_f64 v[22:23], -v[18:19], v[20:21], 1.0
	v_fma_f64 v[20:21], v[20:21], v[22:23], v[20:21]
	v_fma_f64 v[22:23], -v[18:19], v[20:21], 1.0
	v_fma_f64 v[20:21], v[20:21], v[22:23], v[20:21]
	v_div_scale_f64 v[22:23], vcc_lo, v[16:17], v[5:6], v[16:17]
	v_mul_f64 v[24:25], v[22:23], v[20:21]
	v_fma_f64 v[18:19], -v[18:19], v[24:25], v[22:23]
	v_div_fmas_f64 v[18:19], v[18:19], v[20:21], v[24:25]
	v_div_fixup_f64 v[16:17], v[18:19], v[5:6], v[16:17]
	v_fma_f64 v[18:19], -v[3:4], v[7:8], 1.0
	v_fma_f64 v[7:8], v[7:8], v[18:19], v[7:8]
	v_fma_f64 v[18:19], -v[3:4], v[7:8], 1.0
	v_fma_f64 v[7:8], v[7:8], v[18:19], v[7:8]
	v_div_scale_f64 v[18:19], vcc_lo, v[1:2], v[5:6], v[1:2]
	v_mul_f64 v[20:21], v[18:19], v[7:8]
	v_fma_f64 v[3:4], -v[3:4], v[20:21], v[18:19]
	v_div_fmas_f64 v[3:4], v[3:4], v[7:8], v[20:21]
	v_div_fixup_f64 v[1:2], v[3:4], v[5:6], v[1:2]
	v_mul_f64 v[1:2], v[1:2], v[1:2]
	v_fma_f64 v[1:2], v[16:17], v[16:17], v[1:2]
	v_cmp_gt_f64_e32 vcc_lo, 0x10000000, v[1:2]
	v_cndmask_b32_e64 v3, 0, 0x100, vcc_lo
	v_ldexp_f64 v[1:2], v[1:2], v3
	v_rsq_f64_e32 v[3:4], v[1:2]
	v_mul_f64 v[5:6], v[1:2], v[3:4]
	v_mul_f64 v[3:4], v[3:4], 0.5
	v_fma_f64 v[7:8], -v[3:4], v[5:6], 0.5
	v_fma_f64 v[5:6], v[5:6], v[7:8], v[5:6]
	v_fma_f64 v[3:4], v[3:4], v[7:8], v[3:4]
	v_fma_f64 v[16:17], -v[5:6], v[5:6], v[1:2]
	v_fma_f64 v[5:6], v[16:17], v[3:4], v[5:6]
	v_fma_f64 v[7:8], -v[5:6], v[5:6], v[1:2]
	v_fma_f64 v[3:4], v[7:8], v[3:4], v[5:6]
	v_cndmask_b32_e64 v5, 0, 0xffffff80, vcc_lo
	v_cmp_class_f64_e64 vcc_lo, v[1:2], 0x260
	v_ldexp_f64 v[3:4], v[3:4], v5
	v_cndmask_b32_e32 v2, v4, v2, vcc_lo
	v_cndmask_b32_e32 v1, v3, v1, vcc_lo
	s_waitcnt lgkmcnt(0)
	v_add_co_u32 v0, vcc_lo, s0, v0
	v_add_f64 v[1:2], v[9:10], -v[1:2]
	v_cmp_lt_f64_e64 s2, |v[1:2]|, s[2:3]
	v_add_nc_u16 v2, v13, v15
	v_add_nc_u16 v2, v2, v12
	v_add_nc_u16 v2, v2, v14
	v_cndmask_b32_e64 v1, 0, 1, s2
	v_add_nc_u16 v2, v2, v1
	v_add_co_ci_u32_e64 v1, null, s1, v11, vcc_lo
	global_store_byte v[0:1], v2, off
.LBB3_8:
	s_endpgm
	.section	.rodata,"a",@progbits
	.p2align	6, 0x0
	.amdhsa_kernel _Z18ref_complex_doublePci
		.amdhsa_group_segment_fixed_size 0
		.amdhsa_private_segment_fixed_size 0
		.amdhsa_kernarg_size 272
		.amdhsa_user_sgpr_count 6
		.amdhsa_user_sgpr_private_segment_buffer 1
		.amdhsa_user_sgpr_dispatch_ptr 0
		.amdhsa_user_sgpr_queue_ptr 0
		.amdhsa_user_sgpr_kernarg_segment_ptr 1
		.amdhsa_user_sgpr_dispatch_id 0
		.amdhsa_user_sgpr_flat_scratch_init 0
		.amdhsa_user_sgpr_private_segment_size 0
		.amdhsa_wavefront_size32 1
		.amdhsa_uses_dynamic_stack 0
		.amdhsa_system_sgpr_private_segment_wavefront_offset 0
		.amdhsa_system_sgpr_workgroup_id_x 1
		.amdhsa_system_sgpr_workgroup_id_y 0
		.amdhsa_system_sgpr_workgroup_id_z 0
		.amdhsa_system_sgpr_workgroup_info 0
		.amdhsa_system_vgpr_workitem_id 0
		.amdhsa_next_free_vgpr 36
		.amdhsa_next_free_sgpr 11
		.amdhsa_reserve_vcc 1
		.amdhsa_reserve_flat_scratch 0
		.amdhsa_float_round_mode_32 0
		.amdhsa_float_round_mode_16_64 0
		.amdhsa_float_denorm_mode_32 3
		.amdhsa_float_denorm_mode_16_64 3
		.amdhsa_dx10_clamp 1
		.amdhsa_ieee_mode 1
		.amdhsa_fp16_overflow 0
		.amdhsa_workgroup_processor_mode 1
		.amdhsa_memory_ordered 1
		.amdhsa_forward_progress 1
		.amdhsa_shared_vgpr_count 0
		.amdhsa_exception_fp_ieee_invalid_op 0
		.amdhsa_exception_fp_denorm_src 0
		.amdhsa_exception_fp_ieee_div_zero 0
		.amdhsa_exception_fp_ieee_overflow 0
		.amdhsa_exception_fp_ieee_underflow 0
		.amdhsa_exception_fp_ieee_inexact 0
		.amdhsa_exception_int_div_zero 0
	.end_amdhsa_kernel
	.text
.Lfunc_end3:
	.size	_Z18ref_complex_doublePci, .Lfunc_end3-_Z18ref_complex_doublePci
                                        ; -- End function
	.set _Z18ref_complex_doublePci.num_vgpr, 36
	.set _Z18ref_complex_doublePci.num_agpr, 0
	.set _Z18ref_complex_doublePci.numbered_sgpr, 11
	.set _Z18ref_complex_doublePci.num_named_barrier, 0
	.set _Z18ref_complex_doublePci.private_seg_size, 0
	.set _Z18ref_complex_doublePci.uses_vcc, 1
	.set _Z18ref_complex_doublePci.uses_flat_scratch, 0
	.set _Z18ref_complex_doublePci.has_dyn_sized_stack, 0
	.set _Z18ref_complex_doublePci.has_recursion, 0
	.set _Z18ref_complex_doublePci.has_indirect_call, 0
	.section	.AMDGPU.csdata,"",@progbits
; Kernel info:
; codeLenInByte = 2600
; TotalNumSgprs: 13
; NumVgprs: 36
; ScratchSize: 0
; MemoryBound: 0
; FloatMode: 240
; IeeeMode: 1
; LDSByteSize: 0 bytes/workgroup (compile time only)
; SGPRBlocks: 0
; VGPRBlocks: 4
; NumSGPRsForWavesPerEU: 13
; NumVGPRsForWavesPerEU: 36
; Occupancy: 16
; WaveLimiterHint : 0
; COMPUTE_PGM_RSRC2:SCRATCH_EN: 0
; COMPUTE_PGM_RSRC2:USER_SGPR: 6
; COMPUTE_PGM_RSRC2:TRAP_HANDLER: 0
; COMPUTE_PGM_RSRC2:TGID_X_EN: 1
; COMPUTE_PGM_RSRC2:TGID_Y_EN: 0
; COMPUTE_PGM_RSRC2:TGID_Z_EN: 0
; COMPUTE_PGM_RSRC2:TIDIG_COMP_CNT: 0
	.text
	.p2alignl 6, 3214868480
	.fill 48, 4, 3214868480
	.section	.AMDGPU.gpr_maximums,"",@progbits
	.set amdgpu.max_num_vgpr, 0
	.set amdgpu.max_num_agpr, 0
	.set amdgpu.max_num_sgpr, 0
	.text
	.type	__hip_cuid_dc4729ecab20d3b1,@object ; @__hip_cuid_dc4729ecab20d3b1
	.section	.bss,"aw",@nobits
	.globl	__hip_cuid_dc4729ecab20d3b1
__hip_cuid_dc4729ecab20d3b1:
	.byte	0                               ; 0x0
	.size	__hip_cuid_dc4729ecab20d3b1, 1

	.ident	"AMD clang version 22.0.0git (https://github.com/RadeonOpenCompute/llvm-project roc-7.2.4 26084 f58b06dce1f9c15707c5f808fd002e18c2accf7e)"
	.section	".note.GNU-stack","",@progbits
	.addrsig
	.addrsig_sym __hip_cuid_dc4729ecab20d3b1
	.amdgpu_metadata
---
amdhsa.kernels:
  - .args:
      - .address_space:  global
        .offset:         0
        .size:           8
        .value_kind:     global_buffer
      - .offset:         8
        .size:           4
        .value_kind:     by_value
      - .offset:         16
        .size:           4
        .value_kind:     hidden_block_count_x
      - .offset:         20
        .size:           4
        .value_kind:     hidden_block_count_y
      - .offset:         24
        .size:           4
        .value_kind:     hidden_block_count_z
      - .offset:         28
        .size:           2
        .value_kind:     hidden_group_size_x
      - .offset:         30
        .size:           2
        .value_kind:     hidden_group_size_y
      - .offset:         32
        .size:           2
        .value_kind:     hidden_group_size_z
      - .offset:         34
        .size:           2
        .value_kind:     hidden_remainder_x
      - .offset:         36
        .size:           2
        .value_kind:     hidden_remainder_y
      - .offset:         38
        .size:           2
        .value_kind:     hidden_remainder_z
      - .offset:         56
        .size:           8
        .value_kind:     hidden_global_offset_x
      - .offset:         64
        .size:           8
        .value_kind:     hidden_global_offset_y
      - .offset:         72
        .size:           8
        .value_kind:     hidden_global_offset_z
      - .offset:         80
        .size:           2
        .value_kind:     hidden_grid_dims
    .group_segment_fixed_size: 0
    .kernarg_segment_align: 8
    .kernarg_segment_size: 272
    .language:       OpenCL C
    .language_version:
      - 2
      - 0
    .max_flat_workgroup_size: 1024
    .name:           _Z13complex_floatPci
    .private_segment_fixed_size: 0
    .sgpr_count:     20
    .sgpr_spill_count: 0
    .symbol:         _Z13complex_floatPci.kd
    .uniform_work_group_size: 1
    .uses_dynamic_stack: false
    .vgpr_count:     52
    .vgpr_spill_count: 0
    .wavefront_size: 32
    .workgroup_processor_mode: 1
  - .args:
      - .address_space:  global
        .offset:         0
        .size:           8
        .value_kind:     global_buffer
      - .offset:         8
        .size:           4
        .value_kind:     by_value
      - .offset:         16
        .size:           4
        .value_kind:     hidden_block_count_x
      - .offset:         20
        .size:           4
        .value_kind:     hidden_block_count_y
      - .offset:         24
        .size:           4
        .value_kind:     hidden_block_count_z
      - .offset:         28
        .size:           2
        .value_kind:     hidden_group_size_x
      - .offset:         30
        .size:           2
        .value_kind:     hidden_group_size_y
      - .offset:         32
        .size:           2
        .value_kind:     hidden_group_size_z
      - .offset:         34
        .size:           2
        .value_kind:     hidden_remainder_x
      - .offset:         36
        .size:           2
        .value_kind:     hidden_remainder_y
      - .offset:         38
        .size:           2
        .value_kind:     hidden_remainder_z
      - .offset:         56
        .size:           8
        .value_kind:     hidden_global_offset_x
      - .offset:         64
        .size:           8
        .value_kind:     hidden_global_offset_y
      - .offset:         72
        .size:           8
        .value_kind:     hidden_global_offset_z
      - .offset:         80
        .size:           2
        .value_kind:     hidden_grid_dims
    .group_segment_fixed_size: 0
    .kernarg_segment_align: 8
    .kernarg_segment_size: 272
    .language:       OpenCL C
    .language_version:
      - 2
      - 0
    .max_flat_workgroup_size: 1024
    .name:           _Z14complex_doublePci
    .private_segment_fixed_size: 0
    .sgpr_count:     13
    .sgpr_spill_count: 0
    .symbol:         _Z14complex_doublePci.kd
    .uniform_work_group_size: 1
    .uses_dynamic_stack: false
    .vgpr_count:     38
    .vgpr_spill_count: 0
    .wavefront_size: 32
    .workgroup_processor_mode: 1
  - .args:
      - .address_space:  global
        .offset:         0
        .size:           8
        .value_kind:     global_buffer
      - .offset:         8
        .size:           4
        .value_kind:     by_value
      - .offset:         16
        .size:           4
        .value_kind:     hidden_block_count_x
      - .offset:         20
        .size:           4
        .value_kind:     hidden_block_count_y
      - .offset:         24
        .size:           4
        .value_kind:     hidden_block_count_z
      - .offset:         28
        .size:           2
        .value_kind:     hidden_group_size_x
      - .offset:         30
        .size:           2
        .value_kind:     hidden_group_size_y
      - .offset:         32
        .size:           2
        .value_kind:     hidden_group_size_z
      - .offset:         34
        .size:           2
        .value_kind:     hidden_remainder_x
      - .offset:         36
        .size:           2
        .value_kind:     hidden_remainder_y
      - .offset:         38
        .size:           2
        .value_kind:     hidden_remainder_z
      - .offset:         56
        .size:           8
        .value_kind:     hidden_global_offset_x
      - .offset:         64
        .size:           8
        .value_kind:     hidden_global_offset_y
      - .offset:         72
        .size:           8
        .value_kind:     hidden_global_offset_z
      - .offset:         80
        .size:           2
        .value_kind:     hidden_grid_dims
    .group_segment_fixed_size: 0
    .kernarg_segment_align: 8
    .kernarg_segment_size: 272
    .language:       OpenCL C
    .language_version:
      - 2
      - 0
    .max_flat_workgroup_size: 1024
    .name:           _Z17ref_complex_floatPci
    .private_segment_fixed_size: 0
    .sgpr_count:     13
    .sgpr_spill_count: 0
    .symbol:         _Z17ref_complex_floatPci.kd
    .uniform_work_group_size: 1
    .uses_dynamic_stack: false
    .vgpr_count:     53
    .vgpr_spill_count: 0
    .wavefront_size: 32
    .workgroup_processor_mode: 1
  - .args:
      - .address_space:  global
        .offset:         0
        .size:           8
        .value_kind:     global_buffer
      - .offset:         8
        .size:           4
        .value_kind:     by_value
      - .offset:         16
        .size:           4
        .value_kind:     hidden_block_count_x
      - .offset:         20
        .size:           4
        .value_kind:     hidden_block_count_y
      - .offset:         24
        .size:           4
        .value_kind:     hidden_block_count_z
      - .offset:         28
        .size:           2
        .value_kind:     hidden_group_size_x
      - .offset:         30
        .size:           2
        .value_kind:     hidden_group_size_y
      - .offset:         32
        .size:           2
        .value_kind:     hidden_group_size_z
      - .offset:         34
        .size:           2
        .value_kind:     hidden_remainder_x
      - .offset:         36
        .size:           2
        .value_kind:     hidden_remainder_y
      - .offset:         38
        .size:           2
        .value_kind:     hidden_remainder_z
      - .offset:         56
        .size:           8
        .value_kind:     hidden_global_offset_x
      - .offset:         64
        .size:           8
        .value_kind:     hidden_global_offset_y
      - .offset:         72
        .size:           8
        .value_kind:     hidden_global_offset_z
      - .offset:         80
        .size:           2
        .value_kind:     hidden_grid_dims
    .group_segment_fixed_size: 0
    .kernarg_segment_align: 8
    .kernarg_segment_size: 272
    .language:       OpenCL C
    .language_version:
      - 2
      - 0
    .max_flat_workgroup_size: 1024
    .name:           _Z18ref_complex_doublePci
    .private_segment_fixed_size: 0
    .sgpr_count:     13
    .sgpr_spill_count: 0
    .symbol:         _Z18ref_complex_doublePci.kd
    .uniform_work_group_size: 1
    .uses_dynamic_stack: false
    .vgpr_count:     36
    .vgpr_spill_count: 0
    .wavefront_size: 32
    .workgroup_processor_mode: 1
amdhsa.target:   amdgcn-amd-amdhsa--gfx1030
amdhsa.version:
  - 1
  - 2
...

	.end_amdgpu_metadata
